;; amdgpu-corpus repo=ROCm/rocFFT kind=compiled arch=gfx906 opt=O3
	.text
	.amdgcn_target "amdgcn-amd-amdhsa--gfx906"
	.amdhsa_code_object_version 6
	.protected	fft_rtc_back_len1122_factors_17_11_6_wgs_204_tpt_102_halfLds_dp_op_CI_CI_unitstride_sbrr_R2C_dirReg ; -- Begin function fft_rtc_back_len1122_factors_17_11_6_wgs_204_tpt_102_halfLds_dp_op_CI_CI_unitstride_sbrr_R2C_dirReg
	.globl	fft_rtc_back_len1122_factors_17_11_6_wgs_204_tpt_102_halfLds_dp_op_CI_CI_unitstride_sbrr_R2C_dirReg
	.p2align	8
	.type	fft_rtc_back_len1122_factors_17_11_6_wgs_204_tpt_102_halfLds_dp_op_CI_CI_unitstride_sbrr_R2C_dirReg,@function
fft_rtc_back_len1122_factors_17_11_6_wgs_204_tpt_102_halfLds_dp_op_CI_CI_unitstride_sbrr_R2C_dirReg: ; @fft_rtc_back_len1122_factors_17_11_6_wgs_204_tpt_102_halfLds_dp_op_CI_CI_unitstride_sbrr_R2C_dirReg
; %bb.0:
	s_load_dwordx4 s[8:11], s[4:5], 0x58
	s_load_dwordx4 s[12:15], s[4:5], 0x0
	;; [unrolled: 1-line block ×3, first 2 shown]
	v_mul_u32_u24_e32 v1, 0x283, v0
	v_lshrrev_b32_e32 v7, 16, v1
	v_mov_b32_e32 v3, 0
	s_waitcnt lgkmcnt(0)
	v_cmp_lt_u64_e64 s[0:1], s[14:15], 2
	v_mov_b32_e32 v1, 0
	v_lshl_add_u32 v5, s6, 1, v7
	v_mov_b32_e32 v6, v3
	s_and_b64 vcc, exec, s[0:1]
	v_mov_b32_e32 v2, 0
	s_cbranch_vccnz .LBB0_8
; %bb.1:
	s_load_dwordx2 s[0:1], s[4:5], 0x10
	s_add_u32 s2, s18, 8
	s_addc_u32 s3, s19, 0
	s_add_u32 s6, s16, 8
	v_mov_b32_e32 v1, 0
	s_addc_u32 s7, s17, 0
	v_mov_b32_e32 v2, 0
	s_waitcnt lgkmcnt(0)
	s_add_u32 s20, s0, 8
	v_mov_b32_e32 v109, v2
	s_addc_u32 s21, s1, 0
	s_mov_b64 s[22:23], 1
	v_mov_b32_e32 v108, v1
.LBB0_2:                                ; =>This Inner Loop Header: Depth=1
	s_load_dwordx2 s[24:25], s[20:21], 0x0
                                        ; implicit-def: $vgpr112_vgpr113
	s_waitcnt lgkmcnt(0)
	v_or_b32_e32 v4, s25, v6
	v_cmp_ne_u64_e32 vcc, 0, v[3:4]
	s_and_saveexec_b64 s[0:1], vcc
	s_xor_b64 s[26:27], exec, s[0:1]
	s_cbranch_execz .LBB0_4
; %bb.3:                                ;   in Loop: Header=BB0_2 Depth=1
	v_cvt_f32_u32_e32 v4, s24
	v_cvt_f32_u32_e32 v8, s25
	s_sub_u32 s0, 0, s24
	s_subb_u32 s1, 0, s25
	v_mac_f32_e32 v4, 0x4f800000, v8
	v_rcp_f32_e32 v4, v4
	v_mul_f32_e32 v4, 0x5f7ffffc, v4
	v_mul_f32_e32 v8, 0x2f800000, v4
	v_trunc_f32_e32 v8, v8
	v_mac_f32_e32 v4, 0xcf800000, v8
	v_cvt_u32_f32_e32 v8, v8
	v_cvt_u32_f32_e32 v4, v4
	v_mul_lo_u32 v9, s0, v8
	v_mul_hi_u32 v10, s0, v4
	v_mul_lo_u32 v12, s1, v4
	v_mul_lo_u32 v11, s0, v4
	v_add_u32_e32 v9, v10, v9
	v_add_u32_e32 v9, v9, v12
	v_mul_hi_u32 v10, v4, v11
	v_mul_lo_u32 v12, v4, v9
	v_mul_hi_u32 v14, v4, v9
	v_mul_hi_u32 v13, v8, v11
	v_mul_lo_u32 v11, v8, v11
	v_mul_hi_u32 v15, v8, v9
	v_add_co_u32_e32 v10, vcc, v10, v12
	v_addc_co_u32_e32 v12, vcc, 0, v14, vcc
	v_mul_lo_u32 v9, v8, v9
	v_add_co_u32_e32 v10, vcc, v10, v11
	v_addc_co_u32_e32 v10, vcc, v12, v13, vcc
	v_addc_co_u32_e32 v11, vcc, 0, v15, vcc
	v_add_co_u32_e32 v9, vcc, v10, v9
	v_addc_co_u32_e32 v10, vcc, 0, v11, vcc
	v_add_co_u32_e32 v4, vcc, v4, v9
	v_addc_co_u32_e32 v8, vcc, v8, v10, vcc
	v_mul_lo_u32 v9, s0, v8
	v_mul_hi_u32 v10, s0, v4
	v_mul_lo_u32 v11, s1, v4
	v_mul_lo_u32 v12, s0, v4
	v_add_u32_e32 v9, v10, v9
	v_add_u32_e32 v9, v9, v11
	v_mul_lo_u32 v13, v4, v9
	v_mul_hi_u32 v14, v4, v12
	v_mul_hi_u32 v15, v4, v9
	;; [unrolled: 1-line block ×3, first 2 shown]
	v_mul_lo_u32 v12, v8, v12
	v_mul_hi_u32 v10, v8, v9
	v_add_co_u32_e32 v13, vcc, v14, v13
	v_addc_co_u32_e32 v14, vcc, 0, v15, vcc
	v_mul_lo_u32 v9, v8, v9
	v_add_co_u32_e32 v12, vcc, v13, v12
	v_addc_co_u32_e32 v11, vcc, v14, v11, vcc
	v_addc_co_u32_e32 v10, vcc, 0, v10, vcc
	v_add_co_u32_e32 v9, vcc, v11, v9
	v_addc_co_u32_e32 v10, vcc, 0, v10, vcc
	v_add_co_u32_e32 v4, vcc, v4, v9
	v_addc_co_u32_e32 v10, vcc, v8, v10, vcc
	v_mad_u64_u32 v[8:9], s[0:1], v5, v10, 0
	v_mul_hi_u32 v11, v5, v4
	v_add_co_u32_e32 v12, vcc, v11, v8
	v_addc_co_u32_e32 v13, vcc, 0, v9, vcc
	v_mad_u64_u32 v[8:9], s[0:1], v6, v4, 0
	v_mad_u64_u32 v[10:11], s[0:1], v6, v10, 0
	v_add_co_u32_e32 v4, vcc, v12, v8
	v_addc_co_u32_e32 v4, vcc, v13, v9, vcc
	v_addc_co_u32_e32 v8, vcc, 0, v11, vcc
	v_add_co_u32_e32 v4, vcc, v4, v10
	v_addc_co_u32_e32 v10, vcc, 0, v8, vcc
	v_mul_lo_u32 v11, s25, v4
	v_mul_lo_u32 v12, s24, v10
	v_mad_u64_u32 v[8:9], s[0:1], s24, v4, 0
	v_add3_u32 v9, v9, v12, v11
	v_sub_u32_e32 v11, v6, v9
	v_mov_b32_e32 v12, s25
	v_sub_co_u32_e32 v8, vcc, v5, v8
	v_subb_co_u32_e64 v11, s[0:1], v11, v12, vcc
	v_subrev_co_u32_e64 v12, s[0:1], s24, v8
	v_subbrev_co_u32_e64 v11, s[0:1], 0, v11, s[0:1]
	v_cmp_le_u32_e64 s[0:1], s25, v11
	v_cndmask_b32_e64 v13, 0, -1, s[0:1]
	v_cmp_le_u32_e64 s[0:1], s24, v12
	v_cndmask_b32_e64 v12, 0, -1, s[0:1]
	v_cmp_eq_u32_e64 s[0:1], s25, v11
	v_cndmask_b32_e64 v11, v13, v12, s[0:1]
	v_add_co_u32_e64 v12, s[0:1], 2, v4
	v_addc_co_u32_e64 v13, s[0:1], 0, v10, s[0:1]
	v_add_co_u32_e64 v14, s[0:1], 1, v4
	v_addc_co_u32_e64 v15, s[0:1], 0, v10, s[0:1]
	v_subb_co_u32_e32 v9, vcc, v6, v9, vcc
	v_cmp_ne_u32_e64 s[0:1], 0, v11
	v_cmp_le_u32_e32 vcc, s25, v9
	v_cndmask_b32_e64 v11, v15, v13, s[0:1]
	v_cndmask_b32_e64 v13, 0, -1, vcc
	v_cmp_le_u32_e32 vcc, s24, v8
	v_cndmask_b32_e64 v8, 0, -1, vcc
	v_cmp_eq_u32_e32 vcc, s25, v9
	v_cndmask_b32_e32 v8, v13, v8, vcc
	v_cmp_ne_u32_e32 vcc, 0, v8
	v_cndmask_b32_e64 v8, v14, v12, s[0:1]
	v_cndmask_b32_e32 v113, v10, v11, vcc
	v_cndmask_b32_e32 v112, v4, v8, vcc
.LBB0_4:                                ;   in Loop: Header=BB0_2 Depth=1
	s_andn2_saveexec_b64 s[0:1], s[26:27]
	s_cbranch_execz .LBB0_6
; %bb.5:                                ;   in Loop: Header=BB0_2 Depth=1
	v_cvt_f32_u32_e32 v4, s24
	s_sub_i32 s26, 0, s24
	v_mov_b32_e32 v113, v3
	v_rcp_iflag_f32_e32 v4, v4
	v_mul_f32_e32 v4, 0x4f7ffffe, v4
	v_cvt_u32_f32_e32 v4, v4
	v_mul_lo_u32 v8, s26, v4
	v_mul_hi_u32 v8, v4, v8
	v_add_u32_e32 v4, v4, v8
	v_mul_hi_u32 v4, v5, v4
	v_mul_lo_u32 v8, v4, s24
	v_add_u32_e32 v9, 1, v4
	v_sub_u32_e32 v8, v5, v8
	v_subrev_u32_e32 v10, s24, v8
	v_cmp_le_u32_e32 vcc, s24, v8
	v_cndmask_b32_e32 v8, v8, v10, vcc
	v_cndmask_b32_e32 v4, v4, v9, vcc
	v_add_u32_e32 v9, 1, v4
	v_cmp_le_u32_e32 vcc, s24, v8
	v_cndmask_b32_e32 v112, v4, v9, vcc
.LBB0_6:                                ;   in Loop: Header=BB0_2 Depth=1
	s_or_b64 exec, exec, s[0:1]
	v_mul_lo_u32 v4, v113, s24
	v_mul_lo_u32 v10, v112, s25
	v_mad_u64_u32 v[8:9], s[0:1], v112, s24, 0
	s_load_dwordx2 s[0:1], s[6:7], 0x0
	s_load_dwordx2 s[24:25], s[2:3], 0x0
	v_add3_u32 v4, v9, v10, v4
	v_sub_co_u32_e32 v5, vcc, v5, v8
	v_subb_co_u32_e32 v4, vcc, v6, v4, vcc
	s_waitcnt lgkmcnt(0)
	v_mul_lo_u32 v6, s0, v4
	v_mul_lo_u32 v8, s1, v5
	v_mad_u64_u32 v[1:2], s[0:1], s0, v5, v[1:2]
	v_mul_lo_u32 v4, s24, v4
	v_mul_lo_u32 v9, s25, v5
	v_mad_u64_u32 v[108:109], s[0:1], s24, v5, v[108:109]
	s_add_u32 s22, s22, 1
	s_addc_u32 s23, s23, 0
	s_add_u32 s2, s2, 8
	v_add3_u32 v109, v9, v109, v4
	s_addc_u32 s3, s3, 0
	v_mov_b32_e32 v4, s14
	s_add_u32 s6, s6, 8
	v_mov_b32_e32 v5, s15
	s_addc_u32 s7, s7, 0
	v_cmp_ge_u64_e32 vcc, s[22:23], v[4:5]
	s_add_u32 s20, s20, 8
	v_add3_u32 v2, v8, v2, v6
	s_addc_u32 s21, s21, 0
	s_cbranch_vccnz .LBB0_9
; %bb.7:                                ;   in Loop: Header=BB0_2 Depth=1
	v_mov_b32_e32 v5, v112
	v_mov_b32_e32 v6, v113
	s_branch .LBB0_2
.LBB0_8:
	v_mov_b32_e32 v109, v2
	v_mov_b32_e32 v113, v6
	;; [unrolled: 1-line block ×4, first 2 shown]
.LBB0_9:
	s_load_dwordx2 s[2:3], s[4:5], 0x28
	s_lshl_b64 s[6:7], s[14:15], 3
	s_add_u32 s4, s18, s6
	v_and_b32_e32 v3, 1, v7
	s_addc_u32 s5, s19, s7
	s_waitcnt lgkmcnt(0)
	v_cmp_gt_u64_e64 s[0:1], s[2:3], v[112:113]
	v_cmp_le_u64_e64 s[2:3], s[2:3], v[112:113]
	v_cmp_eq_u32_e32 vcc, 1, v3
	v_mov_b32_e32 v3, 0x463
                                        ; implicit-def: $vgpr110
	s_and_saveexec_b64 s[14:15], s[2:3]
	s_xor_b64 s[2:3], exec, s[14:15]
; %bb.10:
	s_mov_b32 s14, 0x2828283
	v_mul_hi_u32 v1, v0, s14
	v_mul_u32_u24_e32 v1, 0x66, v1
	v_sub_u32_e32 v110, v0, v1
                                        ; implicit-def: $vgpr0
                                        ; implicit-def: $vgpr1_vgpr2
; %bb.11:
	s_or_saveexec_b64 s[2:3], s[2:3]
	v_cndmask_b32_e32 v3, 0, v3, vcc
	v_lshlrev_b32_e32 v181, 4, v3
	s_xor_b64 exec, exec, s[2:3]
	s_cbranch_execz .LBB0_13
; %bb.12:
	s_add_u32 s6, s16, s6
	s_addc_u32 s7, s17, s7
	s_load_dwordx2 s[6:7], s[6:7], 0x0
	s_mov_b32 s14, 0x2828283
	v_mul_hi_u32 v5, v0, s14
	s_waitcnt lgkmcnt(0)
	v_mul_lo_u32 v6, s7, v112
	v_mul_lo_u32 v7, s6, v113
	v_mad_u64_u32 v[3:4], s[6:7], s6, v112, 0
	v_mul_u32_u24_e32 v5, 0x66, v5
	v_sub_u32_e32 v110, v0, v5
	v_add3_u32 v4, v4, v7, v6
	v_lshlrev_b64 v[3:4], 4, v[3:4]
	v_mov_b32_e32 v0, s9
	v_add_co_u32_e32 v3, vcc, s8, v3
	v_addc_co_u32_e32 v4, vcc, v0, v4, vcc
	v_lshlrev_b64 v[0:1], 4, v[1:2]
	v_lshlrev_b32_e32 v48, 4, v110
	v_add_co_u32_e32 v0, vcc, v3, v0
	v_addc_co_u32_e32 v1, vcc, v4, v1, vcc
	v_add_co_u32_e32 v24, vcc, v0, v48
	v_addc_co_u32_e32 v25, vcc, 0, v1, vcc
	s_movk_i32 s6, 0x1000
	v_add_co_u32_e32 v26, vcc, s6, v24
	v_addc_co_u32_e32 v27, vcc, 0, v25, vcc
	s_movk_i32 s6, 0x2000
	v_add_co_u32_e32 v44, vcc, s6, v24
	v_addc_co_u32_e32 v45, vcc, 0, v25, vcc
	v_add_co_u32_e32 v46, vcc, 0x3000, v24
	global_load_dwordx4 v[0:3], v[24:25], off
	global_load_dwordx4 v[4:7], v[24:25], off offset:1632
	global_load_dwordx4 v[8:11], v[24:25], off offset:3264
	;; [unrolled: 1-line block ×5, first 2 shown]
	v_addc_co_u32_e32 v47, vcc, 0, v25, vcc
	global_load_dwordx4 v[24:27], v[44:45], off offset:1600
	global_load_dwordx4 v[28:31], v[44:45], off offset:3232
	;; [unrolled: 1-line block ×5, first 2 shown]
	v_add3_u32 v44, 0, v181, v48
	s_waitcnt vmcnt(10)
	ds_write_b128 v44, v[0:3]
	s_waitcnt vmcnt(9)
	ds_write_b128 v44, v[4:7] offset:1632
	s_waitcnt vmcnt(8)
	ds_write_b128 v44, v[8:11] offset:3264
	;; [unrolled: 2-line block ×10, first 2 shown]
.LBB0_13:
	s_or_b64 exec, exec, s[2:3]
	v_lshlrev_b32_e32 v111, 4, v110
	v_add3_u32 v180, 0, v111, v181
	s_waitcnt lgkmcnt(0)
	s_barrier
	ds_read_b128 v[4:7], v180 offset:16896
	ds_read_b128 v[16:19], v180 offset:1056
	v_add_u32_e32 v178, 0, v181
	v_add_u32_e32 v179, v178, v111
	ds_read_b128 v[20:23], v179
	ds_read_b128 v[32:35], v180 offset:2112
	s_waitcnt lgkmcnt(2)
	v_add_f64 v[118:119], v[18:19], -v[6:7]
	ds_read_b128 v[8:11], v180 offset:15840
	v_add_f64 v[116:117], v[18:19], v[6:7]
	s_mov_b32 s8, 0x6c9a05f6
	s_mov_b32 s9, 0xbfe9895b
	v_add_f64 v[114:115], v[16:17], v[4:5]
	s_waitcnt lgkmcnt(0)
	v_add_f64 v[124:125], v[34:35], -v[10:11]
	s_mov_b32 s2, 0x6ed5f1bb
	v_mul_f64 v[76:77], v[118:119], s[8:9]
	s_mov_b32 s3, 0xbfe348c8
	ds_read_b128 v[28:31], v180 offset:3168
	ds_read_b128 v[12:15], v180 offset:14784
	v_add_f64 v[156:157], v[16:17], -v[4:5]
	v_mul_f64 v[86:87], v[116:117], s[2:3]
	v_add_f64 v[122:123], v[34:35], v[10:11]
	s_mov_b32 s38, 0x923c349f
	s_mov_b32 s39, 0x3feec746
	v_fma_f64 v[0:1], v[114:115], s[2:3], -v[76:77]
	v_add_f64 v[120:121], v[32:33], v[8:9]
	v_mul_f64 v[80:81], v[124:125], s[38:39]
	s_waitcnt lgkmcnt(0)
	v_add_f64 v[126:127], v[30:31], -v[14:15]
	s_mov_b32 s6, 0xc61f0d01
	s_mov_b32 s7, 0xbfd183b1
	v_fma_f64 v[2:3], v[156:157], s[8:9], v[86:87]
	v_add_f64 v[158:159], v[32:33], -v[8:9]
	v_mul_f64 v[78:79], v[122:123], s[6:7]
	ds_read_b128 v[24:27], v180 offset:13728
	ds_read_b128 v[40:43], v180 offset:4224
	s_mov_b32 s18, 0x5d8e7cdc
	s_mov_b32 s19, 0xbfd71e95
	v_add_f64 v[0:1], v[20:21], v[0:1]
	v_fma_f64 v[36:37], v[120:121], s[6:7], -v[80:81]
	v_add_f64 v[130:131], v[30:31], v[14:15]
	v_add_f64 v[128:129], v[28:29], v[12:13]
	v_mul_f64 v[82:83], v[126:127], s[18:19]
	s_waitcnt lgkmcnt(0)
	v_add_f64 v[140:141], v[42:43], -v[26:27]
	v_add_f64 v[2:3], v[22:23], v[2:3]
	v_fma_f64 v[38:39], v[158:159], s[38:39], v[78:79]
	s_mov_b32 s14, 0x370991
	s_mov_b32 s24, 0x4363dd80
	;; [unrolled: 1-line block ×4, first 2 shown]
	v_add_f64 v[142:143], v[28:29], -v[12:13]
	v_mul_f64 v[84:85], v[130:131], s[14:15]
	v_add_f64 v[0:1], v[36:37], v[0:1]
	v_fma_f64 v[48:49], v[128:129], s[14:15], -v[82:83]
	v_add_f64 v[134:135], v[42:43], v[26:27]
	v_add_f64 v[132:133], v[40:41], v[24:25]
	v_mul_f64 v[88:89], v[140:141], s[24:25]
	v_add_f64 v[2:3], v[38:39], v[2:3]
	ds_read_b128 v[44:47], v180 offset:5280
	ds_read_b128 v[36:39], v180 offset:12672
	s_mov_b32 s16, 0x910ea3b9
	s_mov_b32 s17, 0xbfeb34fa
	v_fma_f64 v[50:51], v[142:143], s[18:19], v[84:85]
	v_add_f64 v[150:151], v[40:41], -v[24:25]
	v_mul_f64 v[90:91], v[134:135], s[16:17]
	s_waitcnt lgkmcnt(0)
	v_add_f64 v[144:145], v[46:47], -v[38:39]
	v_add_f64 v[0:1], v[48:49], v[0:1]
	v_fma_f64 v[48:49], v[132:133], s[16:17], -v[88:89]
	v_add_f64 v[138:139], v[46:47], v[38:39]
	s_mov_b32 s52, 0xeb564b22
	s_mov_b32 s22, 0x3259b75e
	s_mov_b32 s53, 0x3fefdd0d
	s_mov_b32 s23, 0x3fb79ee6
	v_add_f64 v[2:3], v[50:51], v[2:3]
	v_fma_f64 v[52:53], v[150:151], s[24:25], v[90:91]
	v_add_f64 v[136:137], v[44:45], v[36:37]
	v_mul_f64 v[92:93], v[144:145], s[52:53]
	v_add_f64 v[0:1], v[48:49], v[0:1]
	v_add_f64 v[160:161], v[44:45], -v[36:37]
	v_mul_f64 v[94:95], v[138:139], s[22:23]
	ds_read_b128 v[48:51], v180 offset:11616
	ds_read_b128 v[56:59], v180 offset:6336
	s_mov_b32 s28, 0x75d4884
	v_add_f64 v[2:3], v[52:53], v[2:3]
	ds_read_b128 v[60:63], v180 offset:7392
	ds_read_b128 v[52:55], v180 offset:10560
	v_fma_f64 v[64:65], v[136:137], s[22:23], -v[92:93]
	s_waitcnt lgkmcnt(2)
	v_add_f64 v[166:167], v[58:59], -v[50:51]
	v_add_f64 v[148:149], v[58:59], v[50:51]
	v_fma_f64 v[66:67], v[160:161], s[52:53], v[94:95]
	s_mov_b32 s30, 0x2a9d6da3
	s_mov_b32 s29, 0x3fe7a5f6
	;; [unrolled: 1-line block ×3, first 2 shown]
	v_add_f64 v[146:147], v[56:57], v[48:49]
	v_add_f64 v[170:171], v[56:57], -v[48:49]
	v_mul_f64 v[96:97], v[166:167], s[30:31]
	v_mul_f64 v[98:99], v[148:149], s[28:29]
	s_waitcnt lgkmcnt(0)
	v_add_f64 v[168:169], v[62:63], -v[54:55]
	v_add_f64 v[154:155], v[62:63], v[54:55]
	v_add_f64 v[0:1], v[64:65], v[0:1]
	v_add_f64 v[2:3], v[66:67], v[2:3]
	ds_read_b128 v[68:71], v180 offset:8448
	ds_read_b128 v[64:67], v180 offset:9504
	s_mov_b32 s26, 0x7faef3
	s_mov_b32 s34, 0xacd6c6b4
	;; [unrolled: 1-line block ×4, first 2 shown]
	v_fma_f64 v[72:73], v[146:147], s[28:29], -v[96:97]
	v_fma_f64 v[74:75], v[170:171], s[30:31], v[98:99]
	v_add_f64 v[152:153], v[60:61], v[52:53]
	v_mul_f64 v[100:101], v[168:169], s[34:35]
	v_add_f64 v[172:173], v[60:61], -v[52:53]
	v_mul_f64 v[102:103], v[154:155], s[26:27]
	s_waitcnt lgkmcnt(0)
	v_add_f64 v[174:175], v[70:71], -v[66:67]
	v_add_f64 v[162:163], v[70:71], v[66:67]
	s_mov_b32 s36, 0x2b2883cd
	s_mov_b32 s42, 0x7c9e640b
	;; [unrolled: 1-line block ×4, first 2 shown]
	v_add_f64 v[0:1], v[72:73], v[0:1]
	v_add_f64 v[2:3], v[74:75], v[2:3]
	v_fma_f64 v[72:73], v[152:153], s[26:27], -v[100:101]
	v_fma_f64 v[74:75], v[172:173], s[34:35], v[102:103]
	v_add_f64 v[164:165], v[68:69], v[64:65]
	v_mul_f64 v[104:105], v[174:175], s[42:43]
	v_add_f64 v[176:177], v[68:69], -v[64:65]
	v_mul_f64 v[106:107], v[162:163], s[36:37]
	s_movk_i32 s20, 0x42
	v_cmp_gt_u32_e32 vcc, s20, v110
	v_add_f64 v[0:1], v[72:73], v[0:1]
	v_add_f64 v[2:3], v[74:75], v[2:3]
	v_fma_f64 v[72:73], v[164:165], s[36:37], -v[104:105]
	s_barrier
	v_fma_f64 v[74:75], v[176:177], s[42:43], v[106:107]
	v_add_f64 v[0:1], v[72:73], v[0:1]
	v_add_f64 v[2:3], v[74:75], v[2:3]
	s_and_saveexec_b64 s[20:21], vcc
	s_cbranch_execz .LBB0_15
; %bb.14:
	v_mul_f64 v[72:73], v[156:157], s[34:35]
	v_mul_f64 v[74:75], v[118:119], s[34:35]
	s_mov_b32 s47, 0x3fd71e95
	s_mov_b32 s46, s18
	v_mul_f64 v[184:185], v[158:159], s[46:47]
	v_mul_f64 v[186:187], v[124:125], s[46:47]
	;; [unrolled: 1-line block ×4, first 2 shown]
	v_fma_f64 v[188:189], v[116:117], s[26:27], v[72:73]
	v_fma_f64 v[190:191], v[114:115], s[26:27], -v[74:75]
	s_mov_b32 s49, 0x3fe58eea
	s_mov_b32 s48, s30
	v_fma_f64 v[200:201], v[122:123], s[14:15], v[184:185]
	v_fma_f64 v[202:203], v[120:121], s[14:15], -v[186:187]
	v_mul_f64 v[204:205], v[150:151], s[48:49]
	v_mul_f64 v[206:207], v[140:141], s[48:49]
	v_add_f64 v[188:189], v[22:23], v[188:189]
	v_add_f64 v[190:191], v[20:21], v[190:191]
	v_fma_f64 v[208:209], v[130:131], s[16:17], v[196:197]
	v_fma_f64 v[210:211], v[128:129], s[16:17], -v[198:199]
	v_mul_f64 v[212:213], v[160:161], s[8:9]
	v_mul_f64 v[214:215], v[144:145], s[8:9]
	v_fma_f64 v[216:217], v[134:135], s[28:29], v[204:205]
	v_fma_f64 v[218:219], v[132:133], s[28:29], -v[206:207]
	v_add_f64 v[188:189], v[200:201], v[188:189]
	v_add_f64 v[190:191], v[202:203], v[190:191]
	v_fma_f64 v[72:73], v[116:117], s[26:27], -v[72:73]
	v_mul_f64 v[220:221], v[170:171], s[42:43]
	v_mul_f64 v[222:223], v[166:167], s[42:43]
	v_fma_f64 v[224:225], v[138:139], s[2:3], v[212:213]
	v_fma_f64 v[226:227], v[136:137], s[2:3], -v[214:215]
	v_fma_f64 v[184:185], v[122:123], s[14:15], -v[184:185]
	v_add_f64 v[188:189], v[208:209], v[188:189]
	v_add_f64 v[190:191], v[210:211], v[190:191]
	;; [unrolled: 1-line block ×3, first 2 shown]
	s_mov_b32 s41, 0xbfeec746
	s_mov_b32 s40, s38
	v_fma_f64 v[228:229], v[148:149], s[36:37], v[220:221]
	v_fma_f64 v[230:231], v[146:147], s[36:37], -v[222:223]
	v_fma_f64 v[196:197], v[130:131], s[16:17], -v[196:197]
	v_add_f64 v[188:189], v[216:217], v[188:189]
	v_add_f64 v[190:191], v[218:219], v[190:191]
	v_mul_f64 v[216:217], v[172:173], s[40:41]
	v_mul_f64 v[218:219], v[168:169], s[40:41]
	v_add_f64 v[184:185], v[184:185], v[72:73]
	v_fma_f64 v[204:205], v[134:135], s[28:29], -v[204:205]
	v_mul_f64 v[240:241], v[156:157], s[24:25]
	v_fma_f64 v[242:243], v[114:115], s[26:27], v[74:75]
	v_add_f64 v[188:189], v[224:225], v[188:189]
	v_add_f64 v[190:191], v[226:227], v[190:191]
	v_mul_f64 v[224:225], v[176:177], s[52:53]
	v_mul_f64 v[226:227], v[174:175], s[52:53]
	v_fma_f64 v[232:233], v[154:155], s[6:7], v[216:217]
	v_fma_f64 v[234:235], v[152:153], s[6:7], -v[218:219]
	v_add_f64 v[184:185], v[196:197], v[184:185]
	v_fma_f64 v[212:213], v[138:139], s[2:3], -v[212:213]
	v_add_f64 v[188:189], v[228:229], v[188:189]
	v_add_f64 v[190:191], v[230:231], v[190:191]
	v_fma_f64 v[236:237], v[162:163], s[22:23], v[224:225]
	v_fma_f64 v[238:239], v[164:165], s[22:23], -v[226:227]
	v_mul_f64 v[196:197], v[158:159], s[42:43]
	v_fma_f64 v[186:187], v[120:121], s[14:15], v[186:187]
	v_add_f64 v[184:185], v[204:205], v[184:185]
	s_mov_b32 s45, 0xbfefdd0d
	v_add_f64 v[188:189], v[232:233], v[188:189]
	v_add_f64 v[190:191], v[234:235], v[190:191]
	s_mov_b32 s44, s52
	s_mov_b32 s57, 0x3fe9895b
	;; [unrolled: 1-line block ×3, first 2 shown]
	v_mul_f64 v[192:193], v[156:157], s[8:9]
	v_add_f64 v[184:185], v[212:213], v[184:185]
	v_fma_f64 v[198:199], v[128:129], s[16:17], v[198:199]
	v_add_f64 v[74:75], v[236:237], v[188:189]
	v_add_f64 v[72:73], v[238:239], v[190:191]
	v_fma_f64 v[188:189], v[154:155], s[6:7], -v[216:217]
	v_fma_f64 v[190:191], v[148:149], s[36:37], -v[220:221]
	v_fma_f64 v[216:217], v[116:117], s[16:17], v[240:241]
	v_add_f64 v[220:221], v[20:21], v[242:243]
	v_mul_f64 v[236:237], v[142:143], s[44:45]
	v_fma_f64 v[238:239], v[122:123], s[36:37], v[196:197]
	v_mul_f64 v[242:243], v[150:151], s[56:57]
	v_mul_f64 v[204:205], v[124:125], s[42:43]
	;; [unrolled: 1-line block ×3, first 2 shown]
	v_add_f64 v[184:185], v[190:191], v[184:185]
	v_add_f64 v[216:217], v[22:23], v[216:217]
	;; [unrolled: 1-line block ×3, first 2 shown]
	v_mul_f64 v[220:221], v[118:119], s[24:25]
	v_fma_f64 v[244:245], v[130:131], s[22:23], v[236:237]
	v_mul_f64 v[200:201], v[158:159], s[38:39]
	v_fma_f64 v[206:207], v[132:133], s[28:29], v[206:207]
	v_fma_f64 v[246:247], v[134:135], s[2:3], v[242:243]
	v_add_f64 v[184:185], v[188:189], v[184:185]
	v_add_f64 v[216:217], v[238:239], v[216:217]
	v_fma_f64 v[188:189], v[116:117], s[16:17], -v[240:241]
	v_fma_f64 v[238:239], v[114:115], s[16:17], -v[220:221]
	v_add_f64 v[186:187], v[198:199], v[186:187]
	v_mul_f64 v[198:199], v[160:161], s[18:19]
	v_fma_f64 v[248:249], v[120:121], s[36:37], -v[204:205]
	v_fma_f64 v[196:197], v[122:123], s[36:37], -v[196:197]
	v_add_f64 v[86:87], v[86:87], -v[192:193]
	v_add_f64 v[216:217], v[244:245], v[216:217]
	v_mul_f64 v[244:245], v[126:127], s[44:45]
	v_add_f64 v[238:239], v[20:21], v[238:239]
	v_add_f64 v[188:189], v[22:23], v[188:189]
	v_fma_f64 v[220:221], v[114:115], s[16:17], v[220:221]
	v_fma_f64 v[224:225], v[162:163], s[22:23], -v[224:225]
	v_mul_f64 v[194:195], v[120:121], s[6:7]
	v_mul_f64 v[208:209], v[142:143], s[18:19]
	v_fma_f64 v[212:213], v[136:137], s[2:3], v[214:215]
	v_add_f64 v[186:187], v[206:207], v[186:187]
	v_mul_f64 v[206:207], v[170:171], s[34:35]
	v_fma_f64 v[214:215], v[138:139], s[14:15], v[198:199]
	v_add_f64 v[216:217], v[246:247], v[216:217]
	v_fma_f64 v[246:247], v[128:129], s[22:23], -v[244:245]
	v_add_f64 v[238:239], v[248:249], v[238:239]
	v_mul_f64 v[248:249], v[140:141], s[56:57]
	v_add_f64 v[188:189], v[196:197], v[188:189]
	v_add_f64 v[200:201], v[78:79], -v[200:201]
	v_fma_f64 v[204:205], v[120:121], s[36:37], v[204:205]
	v_add_f64 v[220:221], v[20:21], v[220:221]
	v_add_f64 v[78:79], v[224:225], v[184:185]
	;; [unrolled: 1-line block ×3, first 2 shown]
	v_fma_f64 v[224:225], v[130:131], s[22:23], -v[236:237]
	v_add_f64 v[76:77], v[182:183], v[76:77]
	v_mul_f64 v[202:203], v[128:129], s[14:15]
	v_mul_f64 v[228:229], v[150:151], s[24:25]
	v_fma_f64 v[222:223], v[146:147], s[36:37], v[222:223]
	v_add_f64 v[186:187], v[212:213], v[186:187]
	v_mul_f64 v[212:213], v[172:173], s[48:49]
	v_fma_f64 v[250:251], v[148:149], s[26:27], v[206:207]
	v_add_f64 v[214:215], v[214:215], v[216:217]
	v_mul_f64 v[216:217], v[144:145], s[18:19]
	v_add_f64 v[238:239], v[246:247], v[238:239]
	v_fma_f64 v[246:247], v[132:133], s[2:3], -v[248:249]
	v_fma_f64 v[184:185], v[164:165], s[22:23], v[226:227]
	v_add_f64 v[204:205], v[204:205], v[220:221]
	v_fma_f64 v[226:227], v[128:129], s[22:23], v[244:245]
	v_add_f64 v[84:85], v[84:85], -v[208:209]
	v_add_f64 v[86:87], v[200:201], v[86:87]
	v_fma_f64 v[200:201], v[134:135], s[2:3], -v[242:243]
	v_add_f64 v[188:189], v[224:225], v[188:189]
	v_add_f64 v[80:81], v[194:195], v[80:81]
	;; [unrolled: 1-line block ×3, first 2 shown]
	v_mul_f64 v[210:211], v[132:133], s[16:17]
	v_mul_f64 v[232:233], v[160:161], s[52:53]
	v_fma_f64 v[190:191], v[152:153], s[6:7], v[218:219]
	v_add_f64 v[186:187], v[222:223], v[186:187]
	v_fma_f64 v[218:219], v[154:155], s[28:29], v[212:213]
	v_add_f64 v[214:215], v[250:251], v[214:215]
	v_mul_f64 v[222:223], v[166:167], s[34:35]
	v_fma_f64 v[250:251], v[136:137], s[14:15], -v[216:217]
	v_add_f64 v[238:239], v[246:247], v[238:239]
	v_fma_f64 v[194:195], v[132:133], s[2:3], v[248:249]
	v_add_f64 v[204:205], v[226:227], v[204:205]
	v_add_f64 v[90:91], v[90:91], -v[228:229]
	v_add_f64 v[84:85], v[84:85], v[86:87]
	v_fma_f64 v[86:87], v[138:139], s[14:15], -v[198:199]
	v_add_f64 v[188:189], v[200:201], v[188:189]
	v_add_f64 v[82:83], v[202:203], v[82:83]
	;; [unrolled: 1-line block ×3, first 2 shown]
	v_mul_f64 v[230:231], v[136:137], s[22:23]
	v_add_f64 v[186:187], v[190:191], v[186:187]
	v_add_f64 v[190:191], v[218:219], v[214:215]
	v_fma_f64 v[214:215], v[146:147], s[26:27], -v[222:223]
	v_add_f64 v[218:219], v[250:251], v[238:239]
	v_mul_f64 v[238:239], v[168:169], s[48:49]
	v_fma_f64 v[80:81], v[136:137], s[14:15], v[216:217]
	v_add_f64 v[194:195], v[194:195], v[204:205]
	v_add_f64 v[94:95], v[94:95], -v[232:233]
	v_add_f64 v[84:85], v[90:91], v[84:85]
	v_fma_f64 v[90:91], v[148:149], s[26:27], -v[206:207]
	v_add_f64 v[86:87], v[86:87], v[188:189]
	v_add_f64 v[88:89], v[210:211], v[88:89]
	;; [unrolled: 1-line block ×3, first 2 shown]
	v_mul_f64 v[234:235], v[146:147], s[28:29]
	v_mul_f64 v[246:247], v[170:171], s[30:31]
	v_add_f64 v[214:215], v[214:215], v[218:219]
	v_fma_f64 v[218:219], v[152:153], s[28:29], -v[238:239]
	v_fma_f64 v[82:83], v[146:147], s[26:27], v[222:223]
	v_add_f64 v[80:81], v[80:81], v[194:195]
	v_add_f64 v[84:85], v[94:95], v[84:85]
	v_fma_f64 v[94:95], v[154:155], s[28:29], -v[212:213]
	v_add_f64 v[86:87], v[90:91], v[86:87]
	v_add_f64 v[90:91], v[230:231], v[92:93]
	;; [unrolled: 1-line block ×3, first 2 shown]
	v_mul_f64 v[240:241], v[152:153], s[26:27]
	v_mul_f64 v[250:251], v[172:173], s[34:35]
	v_add_f64 v[214:215], v[218:219], v[214:215]
	v_mul_f64 v[218:219], v[174:175], s[40:41]
	v_add_f64 v[98:99], v[98:99], -v[246:247]
	v_fma_f64 v[88:89], v[152:153], s[28:29], v[238:239]
	v_add_f64 v[80:81], v[82:83], v[80:81]
	v_add_f64 v[86:87], v[94:95], v[86:87]
	;; [unrolled: 1-line block ×4, first 2 shown]
	v_mul_f64 v[196:197], v[176:177], s[42:43]
	v_mul_f64 v[252:253], v[176:177], s[40:41]
	v_add_f64 v[82:83], v[102:103], -v[250:251]
	v_add_f64 v[84:85], v[98:99], v[84:85]
	v_fma_f64 v[96:97], v[164:165], s[6:7], v[218:219]
	v_add_f64 v[88:89], v[88:89], v[80:81]
	v_add_f64 v[100:101], v[240:241], v[100:101]
	;; [unrolled: 1-line block ×3, first 2 shown]
	v_add_f64 v[98:99], v[106:107], -v[196:197]
	v_fma_f64 v[182:183], v[162:163], s[6:7], v[252:253]
	s_mov_b32 s55, 0x3fe0d888
	v_add_f64 v[102:103], v[82:83], v[84:85]
	s_mov_b32 s54, s24
	v_add_f64 v[84:85], v[96:97], v[88:89]
	v_mul_f64 v[96:97], v[156:157], s[40:41]
	v_add_f64 v[94:95], v[100:101], v[94:95]
	v_mul_f64 v[100:101], v[118:119], s[40:41]
	v_mul_f64 v[192:193], v[164:165], s[36:37]
	v_add_f64 v[76:77], v[184:185], v[186:187]
	v_add_f64 v[82:83], v[182:183], v[190:191]
	;; [unrolled: 1-line block ×3, first 2 shown]
	v_mul_f64 v[102:103], v[158:159], s[54:55]
	v_fma_f64 v[106:107], v[116:117], s[6:7], v[96:97]
	v_mul_f64 v[182:183], v[124:125], s[54:55]
	v_fma_f64 v[184:185], v[114:115], s[6:7], -v[100:101]
	v_add_f64 v[88:89], v[192:193], v[104:105]
	v_mul_f64 v[186:187], v[142:143], s[48:49]
	v_fma_f64 v[96:97], v[116:117], s[6:7], -v[96:97]
	v_mul_f64 v[190:191], v[126:127], s[48:49]
	v_fma_f64 v[188:189], v[122:123], s[16:17], v[102:103]
	v_add_f64 v[106:107], v[22:23], v[106:107]
	v_fma_f64 v[192:193], v[120:121], s[16:17], -v[182:183]
	v_add_f64 v[184:185], v[20:21], v[184:185]
	s_mov_b32 s51, 0xbfeca52d
	s_mov_b32 s50, s42
	v_mul_f64 v[194:195], v[150:151], s[50:51]
	v_fma_f64 v[196:197], v[130:131], s[28:29], v[186:187]
	v_fma_f64 v[102:103], v[122:123], s[16:17], -v[102:103]
	v_add_f64 v[96:97], v[22:23], v[96:97]
	v_add_f64 v[106:107], v[188:189], v[106:107]
	v_mul_f64 v[188:189], v[140:141], s[50:51]
	v_fma_f64 v[198:199], v[128:129], s[28:29], -v[190:191]
	v_add_f64 v[184:185], v[192:193], v[184:185]
	v_mul_f64 v[192:193], v[160:161], s[34:35]
	v_fma_f64 v[200:201], v[134:135], s[36:37], v[194:195]
	v_fma_f64 v[186:187], v[130:131], s[28:29], -v[186:187]
	v_add_f64 v[96:97], v[102:103], v[96:97]
	v_add_f64 v[102:103], v[196:197], v[106:107]
	v_mul_f64 v[106:107], v[144:145], s[34:35]
	v_fma_f64 v[196:197], v[132:133], s[36:37], -v[188:189]
	v_add_f64 v[184:185], v[198:199], v[184:185]
	v_fma_f64 v[92:93], v[162:163], s[6:7], -v[252:253]
	v_mul_f64 v[198:199], v[170:171], s[52:53]
	v_fma_f64 v[202:203], v[138:139], s[26:27], v[192:193]
	v_fma_f64 v[194:195], v[134:135], s[36:37], -v[194:195]
	v_add_f64 v[96:97], v[186:187], v[96:97]
	v_add_f64 v[102:103], v[200:201], v[102:103]
	v_mul_f64 v[186:187], v[166:167], s[52:53]
	v_fma_f64 v[200:201], v[136:137], s[26:27], -v[106:107]
	v_add_f64 v[184:185], v[196:197], v[184:185]
	v_add_f64 v[86:87], v[92:93], v[86:87]
	v_mul_f64 v[92:93], v[172:173], s[18:19]
	v_fma_f64 v[196:197], v[148:149], s[22:23], v[198:199]
	v_fma_f64 v[192:193], v[138:139], s[26:27], -v[192:193]
	v_fma_f64 v[100:101], v[114:115], s[6:7], v[100:101]
	v_add_f64 v[96:97], v[194:195], v[96:97]
	v_add_f64 v[102:103], v[202:203], v[102:103]
	v_mul_f64 v[194:195], v[168:169], s[18:19]
	v_fma_f64 v[202:203], v[146:147], s[22:23], -v[186:187]
	v_add_f64 v[184:185], v[200:201], v[184:185]
	v_mul_f64 v[98:99], v[176:177], s[8:9]
	v_fma_f64 v[104:105], v[154:155], s[14:15], v[92:93]
	v_fma_f64 v[198:199], v[148:149], s[22:23], -v[198:199]
	v_fma_f64 v[182:183], v[120:121], s[16:17], v[182:183]
	v_add_f64 v[100:101], v[20:21], v[100:101]
	v_add_f64 v[96:97], v[192:193], v[96:97]
	;; [unrolled: 1-line block ×3, first 2 shown]
	v_mul_f64 v[192:193], v[174:175], s[8:9]
	v_fma_f64 v[196:197], v[152:153], s[14:15], -v[194:195]
	v_add_f64 v[184:185], v[202:203], v[184:185]
	v_fma_f64 v[92:93], v[154:155], s[14:15], -v[92:93]
	v_fma_f64 v[190:191], v[128:129], s[28:29], v[190:191]
	v_add_f64 v[100:101], v[182:183], v[100:101]
	v_add_f64 v[96:97], v[198:199], v[96:97]
	v_fma_f64 v[182:183], v[162:163], s[2:3], v[98:99]
	v_add_f64 v[102:103], v[104:105], v[102:103]
	v_fma_f64 v[104:105], v[164:165], s[2:3], -v[192:193]
	v_add_f64 v[184:185], v[196:197], v[184:185]
	v_fma_f64 v[188:189], v[132:133], s[36:37], v[188:189]
	v_add_f64 v[88:89], v[88:89], v[94:95]
	v_add_f64 v[100:101], v[190:191], v[100:101]
	;; [unrolled: 1-line block ×3, first 2 shown]
	v_fma_f64 v[98:99], v[162:163], s[2:3], -v[98:99]
	v_add_f64 v[94:95], v[182:183], v[102:103]
	v_mul_f64 v[102:103], v[156:157], s[44:45]
	v_add_f64 v[92:93], v[104:105], v[184:185]
	v_fma_f64 v[104:105], v[136:137], s[26:27], v[106:107]
	v_mul_f64 v[106:107], v[118:119], s[44:45]
	v_add_f64 v[100:101], v[188:189], v[100:101]
	v_mul_f64 v[182:183], v[158:159], s[34:35]
	v_mul_f64 v[188:189], v[124:125], s[34:35]
	v_add_f64 v[98:99], v[98:99], v[96:97]
	v_fma_f64 v[184:185], v[116:117], s[22:23], v[102:103]
	v_fma_f64 v[96:97], v[164:165], s[2:3], v[192:193]
	;; [unrolled: 1-line block ×3, first 2 shown]
	v_fma_f64 v[190:191], v[114:115], s[22:23], -v[106:107]
	v_add_f64 v[100:101], v[104:105], v[100:101]
	v_fma_f64 v[104:105], v[152:153], s[14:15], v[194:195]
	v_mul_f64 v[192:193], v[142:143], s[38:39]
	v_fma_f64 v[194:195], v[122:123], s[26:27], v[182:183]
	v_add_f64 v[184:185], v[22:23], v[184:185]
	v_mul_f64 v[196:197], v[126:127], s[38:39]
	v_fma_f64 v[198:199], v[120:121], s[26:27], -v[188:189]
	v_add_f64 v[190:191], v[20:21], v[190:191]
	v_add_f64 v[100:101], v[186:187], v[100:101]
	v_fma_f64 v[102:103], v[116:117], s[22:23], -v[102:103]
	v_mul_f64 v[186:187], v[150:151], s[46:47]
	v_fma_f64 v[200:201], v[130:131], s[6:7], v[192:193]
	v_add_f64 v[184:185], v[194:195], v[184:185]
	v_mul_f64 v[194:195], v[140:141], s[46:47]
	v_fma_f64 v[202:203], v[128:129], s[6:7], -v[196:197]
	v_add_f64 v[190:191], v[198:199], v[190:191]
	v_fma_f64 v[182:183], v[122:123], s[26:27], -v[182:183]
	v_add_f64 v[102:103], v[22:23], v[102:103]
	v_mul_f64 v[198:199], v[160:161], s[50:51]
	v_fma_f64 v[204:205], v[134:135], s[14:15], v[186:187]
	v_add_f64 v[184:185], v[200:201], v[184:185]
	v_mul_f64 v[200:201], v[144:145], s[50:51]
	v_fma_f64 v[206:207], v[132:133], s[14:15], -v[194:195]
	v_add_f64 v[190:191], v[202:203], v[190:191]
	v_fma_f64 v[192:193], v[130:131], s[6:7], -v[192:193]
	v_add_f64 v[102:103], v[182:183], v[102:103]
	;; [unrolled: 8-line block ×5, first 2 shown]
	v_add_f64 v[100:101], v[104:105], v[100:101]
	v_fma_f64 v[104:105], v[162:163], s[28:29], v[186:187]
	v_add_f64 v[184:185], v[208:209], v[184:185]
	v_fma_f64 v[106:107], v[114:115], s[22:23], v[106:107]
	v_fma_f64 v[198:199], v[164:165], s[28:29], -v[206:207]
	v_add_f64 v[190:191], v[212:213], v[190:191]
	v_mul_f64 v[208:209], v[156:157], s[50:51]
	v_fma_f64 v[192:193], v[154:155], s[2:3], -v[192:193]
	v_add_f64 v[182:183], v[182:183], v[102:103]
	v_add_f64 v[96:97], v[96:97], v[100:101]
	v_fma_f64 v[188:189], v[120:121], s[26:27], v[188:189]
	v_add_f64 v[106:107], v[20:21], v[106:107]
	v_add_f64 v[102:103], v[104:105], v[184:185]
	;; [unrolled: 1-line block ×3, first 2 shown]
	v_fma_f64 v[104:105], v[162:163], s[28:29], -v[186:187]
	v_mul_f64 v[186:187], v[158:159], s[8:9]
	v_fma_f64 v[190:191], v[116:117], s[36:37], v[208:209]
	s_mov_b32 s53, 0x3fc7851a
	s_mov_b32 s52, s34
	v_add_f64 v[182:183], v[192:193], v[182:183]
	v_fma_f64 v[184:185], v[128:129], s[6:7], v[196:197]
	v_add_f64 v[106:107], v[188:189], v[106:107]
	v_fma_f64 v[188:189], v[132:133], s[14:15], v[194:195]
	v_mul_f64 v[192:193], v[118:119], s[50:51]
	v_mul_f64 v[194:195], v[142:143], s[52:53]
	v_fma_f64 v[196:197], v[122:123], s[2:3], v[186:187]
	v_add_f64 v[190:191], v[22:23], v[190:191]
	v_fma_f64 v[220:221], v[164:165], s[6:7], -v[218:219]
	v_fma_f64 v[198:199], v[164:165], s[28:29], v[206:207]
	v_add_f64 v[106:107], v[184:185], v[106:107]
	v_fma_f64 v[184:185], v[136:137], s[36:37], v[200:201]
	v_mul_f64 v[200:201], v[124:125], s[8:9]
	v_fma_f64 v[206:207], v[114:115], s[36:37], -v[192:193]
	v_mul_f64 v[210:211], v[150:151], s[38:39]
	v_fma_f64 v[212:213], v[130:131], s[26:27], v[194:195]
	v_add_f64 v[190:191], v[196:197], v[190:191]
	v_add_f64 v[80:81], v[220:221], v[214:215]
	;; [unrolled: 1-line block ×3, first 2 shown]
	v_fma_f64 v[188:189], v[146:147], s[16:17], v[204:205]
	v_mul_f64 v[196:197], v[126:127], s[52:53]
	v_fma_f64 v[204:205], v[120:121], s[2:3], -v[200:201]
	v_add_f64 v[206:207], v[20:21], v[206:207]
	v_mul_f64 v[214:215], v[160:161], s[48:49]
	v_fma_f64 v[216:217], v[134:135], s[6:7], v[210:211]
	v_add_f64 v[190:191], v[212:213], v[190:191]
	v_add_f64 v[106:107], v[184:185], v[106:107]
	v_fma_f64 v[184:185], v[152:153], s[2:3], v[202:203]
	v_mul_f64 v[202:203], v[140:141], s[38:39]
	v_fma_f64 v[212:213], v[128:129], s[26:27], -v[196:197]
	v_add_f64 v[204:205], v[204:205], v[206:207]
	v_mul_f64 v[206:207], v[170:171], s[18:19]
	v_fma_f64 v[218:219], v[138:139], s[28:29], v[214:215]
	v_add_f64 v[190:191], v[216:217], v[190:191]
	v_fma_f64 v[208:209], v[116:117], s[36:37], -v[208:209]
	v_add_f64 v[106:107], v[188:189], v[106:107]
	v_mul_f64 v[188:189], v[144:145], s[48:49]
	v_fma_f64 v[216:217], v[132:133], s[6:7], -v[202:203]
	v_add_f64 v[204:205], v[212:213], v[204:205]
	v_mul_f64 v[212:213], v[172:173], s[44:45]
	v_fma_f64 v[220:221], v[148:149], s[14:15], v[206:207]
	v_add_f64 v[190:191], v[218:219], v[190:191]
	v_fma_f64 v[186:187], v[122:123], s[2:3], -v[186:187]
	v_add_f64 v[208:209], v[22:23], v[208:209]
	v_fma_f64 v[222:223], v[136:137], s[28:29], -v[188:189]
	v_fma_f64 v[194:195], v[130:131], s[26:27], -v[194:195]
	v_add_f64 v[204:205], v[216:217], v[204:205]
	v_mul_f64 v[216:217], v[176:177], s[24:25]
	v_fma_f64 v[224:225], v[154:155], s[22:23], v[212:213]
	v_add_f64 v[190:191], v[220:221], v[190:191]
	v_mul_f64 v[218:219], v[166:167], s[18:19]
	v_add_f64 v[186:187], v[186:187], v[208:209]
	v_add_f64 v[106:107], v[184:185], v[106:107]
	v_fma_f64 v[210:211], v[134:135], s[6:7], -v[210:211]
	v_add_f64 v[204:205], v[222:223], v[204:205]
	v_fma_f64 v[222:223], v[162:163], s[16:17], v[216:217]
	v_mul_f64 v[220:221], v[168:169], s[44:45]
	v_add_f64 v[190:191], v[224:225], v[190:191]
	v_fma_f64 v[208:209], v[146:147], s[14:15], -v[218:219]
	v_add_f64 v[186:187], v[194:195], v[186:187]
	v_add_f64 v[184:185], v[104:105], v[182:183]
	;; [unrolled: 1-line block ×3, first 2 shown]
	v_fma_f64 v[104:105], v[138:139], s[28:29], -v[214:215]
	v_fma_f64 v[192:193], v[114:115], s[36:37], v[192:193]
	v_fma_f64 v[194:195], v[152:153], s[22:23], -v[220:221]
	v_add_f64 v[106:107], v[222:223], v[190:191]
	v_mul_f64 v[190:191], v[156:157], s[30:31]
	v_add_f64 v[186:187], v[210:211], v[186:187]
	v_add_f64 v[204:205], v[208:209], v[204:205]
	v_fma_f64 v[206:207], v[148:149], s[14:15], -v[206:207]
	v_mul_f64 v[208:209], v[158:159], s[44:45]
	v_fma_f64 v[200:201], v[120:121], s[2:3], v[200:201]
	v_add_f64 v[192:193], v[20:21], v[192:193]
	v_mul_f64 v[214:215], v[142:143], s[8:9]
	v_fma_f64 v[210:211], v[116:117], s[28:29], v[190:191]
	v_add_f64 v[104:105], v[104:105], v[186:187]
	v_fma_f64 v[186:187], v[154:155], s[22:23], -v[212:213]
	v_mul_f64 v[212:213], v[118:119], s[30:31]
	v_add_f64 v[194:195], v[194:195], v[204:205]
	v_fma_f64 v[204:205], v[162:163], s[16:17], -v[216:217]
	v_fma_f64 v[216:217], v[122:123], s[22:23], v[208:209]
	v_add_f64 v[18:19], v[22:23], v[18:19]
	v_add_f64 v[210:211], v[22:23], v[210:211]
	;; [unrolled: 1-line block ×3, first 2 shown]
	v_mul_f64 v[206:207], v[124:125], s[44:45]
	v_fma_f64 v[222:223], v[114:115], s[28:29], -v[212:213]
	v_add_f64 v[16:17], v[20:21], v[16:17]
	v_fma_f64 v[196:197], v[128:129], s[26:27], v[196:197]
	v_add_f64 v[192:193], v[200:201], v[192:193]
	v_mul_f64 v[200:201], v[150:151], s[34:35]
	v_fma_f64 v[226:227], v[130:131], s[2:3], v[214:215]
	v_add_f64 v[210:211], v[216:217], v[210:211]
	v_mul_f64 v[216:217], v[126:127], s[8:9]
	v_fma_f64 v[228:229], v[120:121], s[22:23], -v[206:207]
	v_add_f64 v[222:223], v[20:21], v[222:223]
	v_add_f64 v[18:19], v[18:19], v[34:35]
	;; [unrolled: 1-line block ×4, first 2 shown]
	v_mul_f64 v[196:197], v[160:161], s[54:55]
	v_fma_f64 v[230:231], v[134:135], s[26:27], v[200:201]
	v_add_f64 v[210:211], v[226:227], v[210:211]
	v_mul_f64 v[226:227], v[140:141], s[34:35]
	v_fma_f64 v[232:233], v[128:129], s[2:3], -v[216:217]
	v_add_f64 v[222:223], v[228:229], v[222:223]
	v_add_f64 v[18:19], v[18:19], v[30:31]
	;; [unrolled: 1-line block ×3, first 2 shown]
	v_fma_f64 v[228:229], v[138:139], s[16:17], v[196:197]
	v_mul_f64 v[224:225], v[174:175], s[24:25]
	v_add_f64 v[210:211], v[230:231], v[210:211]
	v_mul_f64 v[230:231], v[144:145], s[54:55]
	v_fma_f64 v[234:235], v[132:133], s[26:27], -v[226:227]
	v_add_f64 v[222:223], v[232:233], v[222:223]
	v_add_f64 v[18:19], v[18:19], v[42:43]
	;; [unrolled: 1-line block ×3, first 2 shown]
	v_fma_f64 v[202:203], v[132:133], s[6:7], v[202:203]
	v_fma_f64 v[198:199], v[164:165], s[16:17], -v[224:225]
	v_add_f64 v[210:211], v[228:229], v[210:211]
	v_mul_f64 v[228:229], v[166:167], s[38:39]
	v_fma_f64 v[236:237], v[136:137], s[16:17], -v[230:231]
	v_add_f64 v[222:223], v[234:235], v[222:223]
	v_add_f64 v[18:19], v[18:19], v[46:47]
	;; [unrolled: 1-line block ×4, first 2 shown]
	v_fma_f64 v[190:191], v[116:117], s[28:29], -v[190:191]
	v_fma_f64 v[188:189], v[136:137], s[28:29], v[188:189]
	v_fma_f64 v[104:105], v[146:147], s[6:7], -v[228:229]
	v_add_f64 v[192:193], v[202:203], v[192:193]
	v_add_f64 v[222:223], v[236:237], v[222:223]
	;; [unrolled: 1-line block ×4, first 2 shown]
	v_mul_f64 v[202:203], v[170:171], s[38:39]
	v_add_f64 v[190:191], v[22:23], v[190:191]
	v_fma_f64 v[212:213], v[114:115], s[28:29], v[212:213]
	v_fma_f64 v[214:215], v[130:131], s[2:3], -v[214:215]
	v_add_f64 v[188:189], v[188:189], v[192:193]
	v_add_f64 v[222:223], v[104:105], v[222:223]
	;; [unrolled: 1-line block ×3, first 2 shown]
	v_fma_f64 v[194:195], v[122:123], s[22:23], -v[208:209]
	v_add_f64 v[18:19], v[18:19], v[62:63]
	v_add_f64 v[44:45], v[44:45], v[60:61]
	v_fma_f64 v[192:193], v[148:149], s[6:7], v[202:203]
	v_mul_f64 v[156:157], v[156:157], s[18:19]
	v_mul_f64 v[60:61], v[118:119], s[18:19]
	v_fma_f64 v[200:201], v[134:135], s[26:27], -v[200:201]
	v_mul_f64 v[158:159], v[158:159], s[30:31]
	v_add_f64 v[190:191], v[194:195], v[190:191]
	v_fma_f64 v[194:195], v[148:149], s[6:7], -v[202:203]
	v_fma_f64 v[202:203], v[120:121], s[22:23], v[206:207]
	v_add_f64 v[206:207], v[20:21], v[212:213]
	v_add_f64 v[18:19], v[18:19], v[70:71]
	;; [unrolled: 1-line block ×3, first 2 shown]
	v_fma_f64 v[212:213], v[116:117], s[14:15], v[156:157]
	v_fma_f64 v[116:117], v[116:117], s[14:15], -v[156:157]
	v_add_f64 v[190:191], v[214:215], v[190:191]
	v_fma_f64 v[214:215], v[128:129], s[2:3], v[216:217]
	v_mul_f64 v[124:125], v[124:125], s[30:31]
	v_add_f64 v[202:203], v[202:203], v[206:207]
	v_fma_f64 v[68:69], v[114:115], s[14:15], v[60:61]
	v_fma_f64 v[60:61], v[114:115], s[14:15], -v[60:61]
	v_add_f64 v[18:19], v[18:19], v[66:67]
	v_add_f64 v[44:45], v[44:45], v[64:65]
	v_fma_f64 v[218:219], v[146:147], s[14:15], v[218:219]
	v_fma_f64 v[196:197], v[138:139], s[16:17], -v[196:197]
	v_mul_f64 v[142:143], v[142:143], s[50:51]
	v_fma_f64 v[206:207], v[122:123], s[28:29], v[158:159]
	v_add_f64 v[212:213], v[22:23], v[212:213]
	v_add_f64 v[190:191], v[200:201], v[190:191]
	v_fma_f64 v[200:201], v[132:133], s[26:27], v[226:227]
	v_add_f64 v[32:33], v[214:215], v[202:203]
	v_mul_f64 v[70:71], v[126:127], s[50:51]
	v_fma_f64 v[114:115], v[122:123], s[28:29], -v[158:159]
	v_add_f64 v[22:23], v[22:23], v[116:117]
	v_fma_f64 v[116:117], v[120:121], s[28:29], v[124:125]
	v_add_f64 v[64:65], v[20:21], v[68:69]
	v_fma_f64 v[66:67], v[120:121], s[28:29], -v[124:125]
	v_add_f64 v[20:21], v[20:21], v[60:61]
	v_add_f64 v[18:19], v[18:19], v[54:55]
	;; [unrolled: 1-line block ×3, first 2 shown]
	v_mul_f64 v[232:233], v[172:173], s[42:43]
	v_add_f64 v[188:189], v[218:219], v[188:189]
	v_mul_f64 v[218:219], v[176:177], s[46:47]
	v_mul_f64 v[34:35], v[150:151], s[44:45]
	v_fma_f64 v[150:151], v[130:131], s[36:37], v[142:143]
	v_add_f64 v[202:203], v[206:207], v[212:213]
	v_add_f64 v[190:191], v[196:197], v[190:191]
	v_fma_f64 v[196:197], v[136:137], s[16:17], v[230:231]
	v_add_f64 v[28:29], v[200:201], v[32:33]
	v_mul_f64 v[140:141], v[140:141], s[44:45]
	v_fma_f64 v[60:61], v[130:131], s[36:37], -v[142:143]
	v_add_f64 v[22:23], v[114:115], v[22:23]
	v_fma_f64 v[68:69], v[128:129], s[36:37], v[70:71]
	v_add_f64 v[52:53], v[116:117], v[64:65]
	v_fma_f64 v[54:55], v[128:129], s[36:37], -v[70:71]
	v_add_f64 v[20:21], v[66:67], v[20:21]
	v_add_f64 v[18:19], v[18:19], v[50:51]
	;; [unrolled: 1-line block ×4, first 2 shown]
	v_mul_f64 v[210:211], v[168:169], s[42:43]
	v_fma_f64 v[236:237], v[162:163], s[14:15], v[218:219]
	v_fma_f64 v[208:209], v[162:163], s[14:15], -v[218:219]
	v_fma_f64 v[218:219], v[154:155], s[36:37], -v[232:233]
	v_mul_f64 v[30:31], v[160:161], s[40:41]
	v_fma_f64 v[32:33], v[134:135], s[22:23], v[34:35]
	v_add_f64 v[150:151], v[150:151], v[202:203]
	v_add_f64 v[160:161], v[194:195], v[190:191]
	v_fma_f64 v[190:191], v[146:147], s[6:7], v[228:229]
	v_add_f64 v[28:29], v[196:197], v[28:29]
	v_mul_f64 v[118:119], v[144:145], s[40:41]
	v_fma_f64 v[34:35], v[134:135], s[22:23], -v[34:35]
	v_add_f64 v[22:23], v[60:61], v[22:23]
	v_fma_f64 v[60:61], v[132:133], s[22:23], v[140:141]
	v_add_f64 v[48:49], v[68:69], v[52:53]
	v_fma_f64 v[50:51], v[132:133], s[22:23], -v[140:141]
	v_add_f64 v[20:21], v[54:55], v[20:21]
	v_add_f64 v[18:19], v[18:19], v[38:39]
	v_add_f64 v[36:37], v[44:45], v[36:37]
	v_mul_f64 v[40:41], v[170:171], s[8:9]
	v_fma_f64 v[42:43], v[138:139], s[6:7], v[30:31]
	v_add_f64 v[32:33], v[32:33], v[150:151]
	v_add_f64 v[150:151], v[218:219], v[160:161]
	v_fma_f64 v[160:161], v[152:153], s[36:37], v[210:211]
	v_add_f64 v[28:29], v[190:191], v[28:29]
	v_mul_f64 v[62:63], v[166:167], s[8:9]
	v_fma_f64 v[30:31], v[138:139], s[6:7], -v[30:31]
	v_add_f64 v[22:23], v[34:35], v[22:23]
	v_fma_f64 v[34:35], v[136:137], s[6:7], v[118:119]
	v_add_f64 v[38:39], v[60:61], v[48:49]
	v_fma_f64 v[44:45], v[136:137], s[6:7], -v[118:119]
	v_add_f64 v[20:21], v[50:51], v[20:21]
	v_add_f64 v[18:19], v[18:19], v[26:27]
	;; [unrolled: 1-line block ×3, first 2 shown]
	v_mul_f64 v[46:47], v[172:173], s[24:25]
	v_fma_f64 v[170:171], v[148:149], s[2:3], v[40:41]
	v_add_f64 v[28:29], v[160:161], v[28:29]
	v_mul_f64 v[160:161], v[168:169], s[24:25]
	v_fma_f64 v[40:41], v[148:149], s[2:3], -v[40:41]
	v_add_f64 v[22:23], v[30:31], v[22:23]
	v_fma_f64 v[30:31], v[146:147], s[2:3], v[62:63]
	v_add_f64 v[26:27], v[34:35], v[38:39]
	v_fma_f64 v[234:235], v[154:155], s[36:37], v[232:233]
	v_add_f64 v[32:33], v[42:43], v[32:33]
	v_fma_f64 v[34:35], v[146:147], s[2:3], -v[62:63]
	v_add_f64 v[20:21], v[44:45], v[20:21]
	v_add_f64 v[14:15], v[18:19], v[14:15]
	;; [unrolled: 1-line block ×4, first 2 shown]
	v_mul_f64 v[56:57], v[176:177], s[34:35]
	v_mul_f64 v[150:151], v[174:175], s[34:35]
	v_fma_f64 v[36:37], v[154:155], s[16:17], -v[46:47]
	v_add_f64 v[22:23], v[40:41], v[22:23]
	v_fma_f64 v[38:39], v[152:153], s[16:17], v[160:161]
	v_add_f64 v[18:19], v[30:31], v[26:27]
	v_add_f64 v[192:193], v[234:235], v[192:193]
	v_mul_f64 v[234:235], v[174:175], s[46:47]
	v_fma_f64 v[220:221], v[152:153], s[22:23], v[220:221]
	v_fma_f64 v[238:239], v[152:153], s[36:37], -v[210:211]
	v_fma_f64 v[58:59], v[154:155], s[16:17], v[46:47]
	v_add_f64 v[32:33], v[170:171], v[32:33]
	v_fma_f64 v[24:25], v[152:153], s[16:17], -v[160:161]
	v_add_f64 v[20:21], v[34:35], v[20:21]
	v_add_f64 v[10:11], v[14:15], v[10:11]
	;; [unrolled: 1-line block ×3, first 2 shown]
	v_fma_f64 v[26:27], v[162:163], s[26:27], -v[56:57]
	v_add_f64 v[22:23], v[36:37], v[22:23]
	v_fma_f64 v[30:31], v[164:165], s[26:27], v[150:151]
	v_add_f64 v[18:19], v[38:39], v[18:19]
	v_fma_f64 v[42:43], v[164:165], s[14:15], v[234:235]
	v_fma_f64 v[224:225], v[164:165], s[16:17], v[224:225]
	v_add_f64 v[220:221], v[220:221], v[188:189]
	v_add_f64 v[188:189], v[204:205], v[186:187]
	v_fma_f64 v[198:199], v[164:165], s[14:15], -v[234:235]
	v_add_f64 v[204:205], v[238:239], v[222:223]
	v_fma_f64 v[34:35], v[162:163], s[26:27], v[56:57]
	v_add_f64 v[32:33], v[58:59], v[32:33]
	v_fma_f64 v[36:37], v[164:165], s[26:27], -v[150:151]
	v_add_f64 v[24:25], v[24:25], v[20:21]
	v_add_f64 v[12:13], v[10:11], v[6:7]
	;; [unrolled: 1-line block ×7, first 2 shown]
	v_mul_u32_u24_e32 v4, 0x110, v110
	v_add3_u32 v4, 0, v4, v181
	v_add_f64 v[192:193], v[236:237], v[192:193]
	v_add_f64 v[190:191], v[198:199], v[204:205]
	;; [unrolled: 1-line block ×4, first 2 shown]
	ds_write_b128 v4, v[10:13]
	ds_write_b128 v4, v[6:9] offset:16
	ds_write_b128 v4, v[14:17] offset:32
	;; [unrolled: 1-line block ×16, first 2 shown]
.LBB0_15:
	s_or_b64 exec, exec, s[20:21]
	s_load_dwordx2 s[2:3], s[4:5], 0x0
	s_movk_i32 s4, 0xf1
	v_mul_lo_u16_sdwa v4, v110, s4 dst_sel:DWORD dst_unused:UNUSED_PAD src0_sel:BYTE_0 src1_sel:DWORD
	v_lshrrev_b16_e32 v24, 12, v4
	v_mul_lo_u16_e32 v4, 17, v24
	v_sub_u16_e32 v25, v110, v4
	v_mov_b32_e32 v4, 10
	v_mul_u32_u24_sdwa v4, v25, v4 dst_sel:DWORD dst_unused:UNUSED_PAD src0_sel:BYTE_0 src1_sel:DWORD
	v_lshlrev_b32_e32 v46, 4, v4
	s_waitcnt lgkmcnt(0)
	s_barrier
	global_load_dwordx4 v[4:7], v46, s[12:13]
	global_load_dwordx4 v[8:11], v46, s[12:13] offset:16
	global_load_dwordx4 v[12:15], v46, s[12:13] offset:32
	;; [unrolled: 1-line block ×9, first 2 shown]
	ds_read_b128 v[46:49], v179
	ds_read_b128 v[50:53], v180 offset:1632
	ds_read_b128 v[54:57], v180 offset:3264
	;; [unrolled: 1-line block ×10, first 2 shown]
	s_mov_b32 s24, 0xf8bb580b
	s_mov_b32 s8, 0x43842ef
	;; [unrolled: 1-line block ×30, first 2 shown]
	s_waitcnt vmcnt(0) lgkmcnt(0)
	s_barrier
	v_mul_f64 v[90:91], v[52:53], v[6:7]
	v_mul_f64 v[6:7], v[50:51], v[6:7]
	v_mul_f64 v[92:93], v[56:57], v[10:11]
	v_mul_f64 v[10:11], v[54:55], v[10:11]
	v_mul_f64 v[94:95], v[60:61], v[14:15]
	v_mul_f64 v[14:15], v[58:59], v[14:15]
	v_mul_f64 v[96:97], v[64:65], v[18:19]
	v_mul_f64 v[18:19], v[62:63], v[18:19]
	v_mul_f64 v[98:99], v[68:69], v[22:23]
	v_mul_f64 v[22:23], v[66:67], v[22:23]
	v_mul_f64 v[100:101], v[72:73], v[28:29]
	v_mul_f64 v[28:29], v[70:71], v[28:29]
	v_mul_f64 v[114:115], v[88:89], v[44:45]
	v_mul_f64 v[44:45], v[86:87], v[44:45]
	v_fma_f64 v[50:51], v[50:51], v[4:5], v[90:91]
	v_fma_f64 v[4:5], v[52:53], v[4:5], -v[6:7]
	v_fma_f64 v[6:7], v[54:55], v[8:9], v[92:93]
	v_fma_f64 v[8:9], v[56:57], v[8:9], -v[10:11]
	;; [unrolled: 2-line block ×7, first 2 shown]
	v_add_f64 v[42:43], v[46:47], v[50:51]
	v_add_f64 v[44:45], v[48:49], v[4:5]
	v_mul_f64 v[102:103], v[76:77], v[32:33]
	v_mul_f64 v[32:33], v[74:75], v[32:33]
	;; [unrolled: 1-line block ×6, first 2 shown]
	v_add_f64 v[42:43], v[42:43], v[6:7]
	v_add_f64 v[44:45], v[44:45], v[8:9]
	v_fma_f64 v[54:55], v[74:75], v[30:31], v[102:103]
	v_fma_f64 v[30:31], v[76:77], v[30:31], -v[32:33]
	v_fma_f64 v[32:33], v[78:79], v[34:35], v[104:105]
	v_fma_f64 v[34:35], v[80:81], v[34:35], -v[36:37]
	;; [unrolled: 2-line block ×3, first 2 shown]
	v_add_f64 v[42:43], v[42:43], v[10:11]
	v_add_f64 v[44:45], v[44:45], v[12:13]
	;; [unrolled: 1-line block ×3, first 2 shown]
	v_add_f64 v[4:5], v[4:5], -v[28:29]
	v_add_f64 v[40:41], v[50:51], v[26:27]
	v_add_f64 v[50:51], v[50:51], -v[26:27]
	v_add_f64 v[58:59], v[6:7], v[36:37]
	v_add_f64 v[60:61], v[8:9], v[38:39]
	;; [unrolled: 1-line block ×4, first 2 shown]
	v_add_f64 v[8:9], v[8:9], -v[38:39]
	v_mul_f64 v[62:63], v[4:5], s[24:25]
	v_mul_f64 v[70:71], v[4:5], s[8:9]
	;; [unrolled: 1-line block ×5, first 2 shown]
	v_add_f64 v[42:43], v[42:43], v[18:19]
	v_add_f64 v[44:45], v[44:45], v[20:21]
	v_add_f64 v[6:7], v[6:7], -v[36:37]
	v_mul_f64 v[64:65], v[56:57], s[18:19]
	v_mul_f64 v[66:67], v[4:5], s[4:5]
	;; [unrolled: 1-line block ×5, first 2 shown]
	v_add_f64 v[42:43], v[42:43], v[22:23]
	v_add_f64 v[44:45], v[44:45], v[52:53]
	v_fma_f64 v[80:81], v[40:41], s[18:19], v[62:63]
	v_fma_f64 v[88:89], v[40:41], s[16:17], v[70:71]
	;; [unrolled: 1-line block ×3, first 2 shown]
	v_fma_f64 v[70:71], v[40:41], s[16:17], -v[70:71]
	v_fma_f64 v[72:73], v[50:51], s[8:9], v[72:73]
	v_fma_f64 v[92:93], v[40:41], s[28:29], v[74:75]
	v_add_f64 v[42:43], v[42:43], v[54:55]
	v_add_f64 v[44:45], v[44:45], v[30:31]
	v_fma_f64 v[94:95], v[50:51], s[30:31], v[76:77]
	v_mul_f64 v[56:57], v[56:57], s[36:37]
	v_fma_f64 v[82:83], v[50:51], s[22:23], v[64:65]
	v_fma_f64 v[62:63], v[40:41], s[18:19], -v[62:63]
	v_fma_f64 v[84:85], v[40:41], s[6:7], v[66:67]
	v_fma_f64 v[86:87], v[50:51], s[14:15], v[68:69]
	v_add_f64 v[42:43], v[42:43], v[32:33]
	v_add_f64 v[44:45], v[44:45], v[34:35]
	v_fma_f64 v[66:67], v[40:41], s[6:7], -v[66:67]
	v_fma_f64 v[74:75], v[40:41], s[28:29], -v[74:75]
	v_fma_f64 v[96:97], v[40:41], s[36:37], v[4:5]
	v_add_f64 v[80:81], v[46:47], v[80:81]
	v_fma_f64 v[4:5], v[40:41], s[36:37], -v[4:5]
	v_fma_f64 v[64:65], v[50:51], s[24:25], v[64:65]
	v_add_f64 v[36:37], v[42:43], v[36:37]
	v_add_f64 v[38:39], v[44:45], v[38:39]
	v_add_f64 v[42:43], v[46:47], v[70:71]
	v_add_f64 v[44:45], v[48:49], v[72:73]
	v_add_f64 v[70:71], v[46:47], v[92:93]
	v_add_f64 v[72:73], v[48:49], v[94:95]
	v_mul_f64 v[92:93], v[60:61], s[28:29]
	v_fma_f64 v[94:95], v[58:59], s[6:7], v[78:79]
	v_add_f64 v[26:27], v[36:37], v[26:27]
	v_mul_f64 v[36:37], v[60:61], s[6:7]
	v_fma_f64 v[68:69], v[50:51], s[4:5], v[68:69]
	v_fma_f64 v[76:77], v[50:51], s[26:27], v[76:77]
	;; [unrolled: 1-line block ×3, first 2 shown]
	v_add_f64 v[82:83], v[48:49], v[82:83]
	v_add_f64 v[62:63], v[46:47], v[62:63]
	;; [unrolled: 1-line block ×8, first 2 shown]
	v_fma_f64 v[38:39], v[50:51], s[34:35], v[56:57]
	v_add_f64 v[40:41], v[46:47], v[96:97]
	v_mul_f64 v[56:57], v[8:9], s[26:27]
	v_fma_f64 v[96:97], v[6:7], s[14:15], v[36:37]
	v_add_f64 v[4:5], v[46:47], v[4:5]
	v_fma_f64 v[46:47], v[58:59], s[6:7], -v[78:79]
	v_fma_f64 v[78:79], v[6:7], s[30:31], v[92:93]
	v_add_f64 v[80:81], v[94:95], v[80:81]
	v_mul_f64 v[94:95], v[8:9], s[38:39]
	v_add_f64 v[64:65], v[48:49], v[64:65]
	v_add_f64 v[68:69], v[48:49], v[68:69]
	;; [unrolled: 1-line block ×6, first 2 shown]
	v_fma_f64 v[36:37], v[6:7], s[4:5], v[36:37]
	v_fma_f64 v[48:49], v[58:59], s[28:29], v[56:57]
	v_add_f64 v[82:83], v[96:97], v[82:83]
	v_mul_f64 v[96:97], v[60:61], s[36:37]
	v_add_f64 v[46:47], v[46:47], v[62:63]
	v_add_f64 v[62:63], v[78:79], v[86:87]
	v_fma_f64 v[56:57], v[58:59], s[28:29], -v[56:57]
	v_fma_f64 v[78:79], v[58:59], s[36:37], v[94:95]
	v_mul_f64 v[86:87], v[8:9], s[20:21]
	v_add_f64 v[36:37], v[36:37], v[64:65]
	v_add_f64 v[48:49], v[48:49], v[84:85]
	v_fma_f64 v[64:65], v[6:7], s[26:27], v[92:93]
	v_fma_f64 v[84:85], v[6:7], s[34:35], v[96:97]
	v_mul_f64 v[92:93], v[60:61], s[16:17]
	v_add_f64 v[56:57], v[56:57], v[66:67]
	v_add_f64 v[66:67], v[78:79], v[88:89]
	v_fma_f64 v[78:79], v[58:59], s[16:17], v[86:87]
	v_fma_f64 v[86:87], v[58:59], s[16:17], -v[86:87]
	v_mul_f64 v[8:9], v[8:9], s[22:23]
	v_add_f64 v[64:65], v[64:65], v[68:69]
	v_add_f64 v[68:69], v[84:85], v[90:91]
	v_fma_f64 v[84:85], v[6:7], s[8:9], v[92:93]
	v_fma_f64 v[88:89], v[6:7], s[20:21], v[92:93]
	v_mul_f64 v[60:61], v[60:61], s[18:19]
	v_add_f64 v[70:71], v[78:79], v[70:71]
	v_add_f64 v[78:79], v[12:13], -v[34:35]
	v_add_f64 v[12:13], v[12:13], v[34:35]
	v_add_f64 v[34:35], v[86:87], v[74:75]
	;; [unrolled: 1-line block ×5, first 2 shown]
	v_fma_f64 v[76:77], v[58:59], s[18:19], v[8:9]
	v_fma_f64 v[84:85], v[6:7], s[24:25], v[60:61]
	v_add_f64 v[10:11], v[10:11], -v[32:33]
	v_mul_f64 v[32:33], v[78:79], s[8:9]
	v_mul_f64 v[88:89], v[12:13], s[16:17]
	v_fma_f64 v[94:95], v[58:59], s[36:37], -v[94:95]
	v_fma_f64 v[96:97], v[6:7], s[38:39], v[96:97]
	v_fma_f64 v[8:9], v[58:59], s[18:19], -v[8:9]
	v_fma_f64 v[6:7], v[6:7], s[22:23], v[60:61]
	v_add_f64 v[40:41], v[76:77], v[40:41]
	v_add_f64 v[50:51], v[84:85], v[50:51]
	v_mul_f64 v[58:59], v[78:79], s[38:39]
	v_mul_f64 v[60:61], v[12:13], s[36:37]
	v_fma_f64 v[76:77], v[86:87], s[16:17], v[32:33]
	v_fma_f64 v[84:85], v[10:11], s[20:21], v[88:89]
	v_add_f64 v[4:5], v[8:9], v[4:5]
	v_add_f64 v[6:7], v[6:7], v[38:39]
	v_fma_f64 v[8:9], v[86:87], s[16:17], -v[32:33]
	v_fma_f64 v[32:33], v[10:11], s[8:9], v[88:89]
	v_fma_f64 v[38:39], v[86:87], s[36:37], v[58:59]
	;; [unrolled: 1-line block ×3, first 2 shown]
	v_add_f64 v[76:77], v[76:77], v[80:81]
	v_add_f64 v[80:81], v[84:85], v[82:83]
	v_mul_f64 v[82:83], v[78:79], s[14:15]
	v_mul_f64 v[84:85], v[12:13], s[6:7]
	v_add_f64 v[8:9], v[8:9], v[46:47]
	v_add_f64 v[32:33], v[32:33], v[36:37]
	;; [unrolled: 1-line block ×4, first 2 shown]
	v_fma_f64 v[46:47], v[86:87], s[36:37], -v[58:59]
	v_fma_f64 v[48:49], v[10:11], s[38:39], v[60:61]
	v_fma_f64 v[58:59], v[86:87], s[6:7], v[82:83]
	;; [unrolled: 1-line block ×3, first 2 shown]
	v_mul_f64 v[62:63], v[78:79], s[24:25]
	v_mul_f64 v[88:89], v[12:13], s[18:19]
	;; [unrolled: 1-line block ×3, first 2 shown]
	v_fma_f64 v[84:85], v[10:11], s[14:15], v[84:85]
	v_add_f64 v[46:47], v[46:47], v[56:57]
	v_add_f64 v[48:49], v[48:49], v[64:65]
	;; [unrolled: 1-line block ×4, first 2 shown]
	v_fma_f64 v[60:61], v[86:87], s[18:19], v[62:63]
	v_fma_f64 v[64:65], v[10:11], s[22:23], v[88:89]
	v_mul_f64 v[66:67], v[78:79], s[26:27]
	v_fma_f64 v[62:63], v[86:87], s[18:19], -v[62:63]
	v_fma_f64 v[68:69], v[10:11], s[24:25], v[88:89]
	v_add_f64 v[42:43], v[94:95], v[42:43]
	v_fma_f64 v[82:83], v[86:87], s[6:7], -v[82:83]
	v_add_f64 v[44:45], v[96:97], v[44:45]
	v_add_f64 v[60:61], v[60:61], v[70:71]
	v_add_f64 v[70:71], v[16:17], -v[30:31]
	v_add_f64 v[16:17], v[16:17], v[30:31]
	v_add_f64 v[64:65], v[64:65], v[72:73]
	v_fma_f64 v[30:31], v[86:87], s[28:29], v[66:67]
	v_fma_f64 v[72:73], v[10:11], s[30:31], v[12:13]
	v_add_f64 v[34:35], v[62:63], v[34:35]
	v_add_f64 v[62:63], v[68:69], v[74:75]
	;; [unrolled: 1-line block ×3, first 2 shown]
	v_add_f64 v[14:15], v[14:15], -v[54:55]
	v_mul_f64 v[54:55], v[70:71], s[26:27]
	v_mul_f64 v[74:75], v[16:17], s[28:29]
	v_add_f64 v[30:31], v[30:31], v[40:41]
	v_add_f64 v[40:41], v[72:73], v[50:51]
	v_fma_f64 v[50:51], v[86:87], s[28:29], -v[66:67]
	v_fma_f64 v[10:11], v[10:11], s[26:27], v[12:13]
	v_mul_f64 v[12:13], v[70:71], s[20:21]
	v_mul_f64 v[66:67], v[16:17], s[16:17]
	v_fma_f64 v[72:73], v[68:69], s[28:29], v[54:55]
	v_fma_f64 v[78:79], v[14:15], s[30:31], v[74:75]
	v_fma_f64 v[54:55], v[68:69], s[28:29], -v[54:55]
	v_fma_f64 v[74:75], v[14:15], s[26:27], v[74:75]
	v_add_f64 v[4:5], v[50:51], v[4:5]
	v_add_f64 v[6:7], v[10:11], v[6:7]
	v_fma_f64 v[10:11], v[68:69], s[16:17], v[12:13]
	v_fma_f64 v[50:51], v[14:15], s[8:9], v[66:67]
	;; [unrolled: 1-line block ×3, first 2 shown]
	v_add_f64 v[42:43], v[82:83], v[42:43]
	v_add_f64 v[8:9], v[54:55], v[8:9]
	;; [unrolled: 1-line block ×3, first 2 shown]
	v_mul_f64 v[32:33], v[70:71], s[24:25]
	v_add_f64 v[72:73], v[72:73], v[76:77]
	v_add_f64 v[76:77], v[78:79], v[80:81]
	v_mul_f64 v[74:75], v[16:17], s[18:19]
	v_add_f64 v[10:11], v[10:11], v[36:37]
	v_add_f64 v[36:37], v[50:51], v[38:39]
	v_mul_f64 v[38:39], v[70:71], s[34:35]
	v_mul_f64 v[50:51], v[16:17], s[36:37]
	v_fma_f64 v[12:13], v[68:69], s[16:17], -v[12:13]
	v_fma_f64 v[78:79], v[68:69], s[18:19], v[32:33]
	v_fma_f64 v[32:33], v[68:69], s[18:19], -v[32:33]
	v_add_f64 v[48:49], v[66:67], v[48:49]
	v_add_f64 v[66:67], v[20:21], -v[52:53]
	v_add_f64 v[44:45], v[84:85], v[44:45]
	v_fma_f64 v[80:81], v[14:15], s[22:23], v[74:75]
	v_fma_f64 v[74:75], v[14:15], s[24:25], v[74:75]
	;; [unrolled: 1-line block ×4, first 2 shown]
	v_add_f64 v[46:47], v[12:13], v[46:47]
	v_add_f64 v[42:43], v[32:33], v[42:43]
	v_mul_f64 v[12:13], v[70:71], s[14:15]
	v_mul_f64 v[16:17], v[16:17], s[6:7]
	v_fma_f64 v[32:33], v[68:69], s[36:37], -v[38:39]
	v_fma_f64 v[38:39], v[14:15], s[34:35], v[50:51]
	v_add_f64 v[50:51], v[18:19], v[22:23]
	v_add_f64 v[22:23], v[18:19], -v[22:23]
	v_mul_f64 v[18:19], v[66:67], s[34:35]
	v_add_f64 v[20:21], v[20:21], v[52:53]
	v_add_f64 v[56:57], v[78:79], v[56:57]
	;; [unrolled: 1-line block ×3, first 2 shown]
	v_fma_f64 v[70:71], v[68:69], s[6:7], v[12:13]
	v_fma_f64 v[74:75], v[14:15], s[4:5], v[16:17]
	v_add_f64 v[78:79], v[32:33], v[34:35]
	v_fma_f64 v[14:15], v[14:15], s[14:15], v[16:17]
	v_fma_f64 v[16:17], v[50:51], s[36:37], v[18:19]
	v_mul_f64 v[34:35], v[66:67], s[22:23]
	v_mul_f64 v[52:53], v[20:21], s[36:37]
	v_add_f64 v[62:63], v[38:39], v[62:63]
	v_fma_f64 v[12:13], v[68:69], s[6:7], -v[12:13]
	v_mul_f64 v[38:39], v[20:21], s[18:19]
	v_add_f64 v[68:69], v[70:71], v[30:31]
	v_add_f64 v[70:71], v[74:75], v[40:41]
	;; [unrolled: 1-line block ×3, first 2 shown]
	v_fma_f64 v[16:17], v[50:51], s[18:19], v[34:35]
	v_mul_f64 v[40:41], v[66:67], s[26:27]
	v_fma_f64 v[32:33], v[22:23], s[38:39], v[52:53]
	v_add_f64 v[4:5], v[12:13], v[4:5]
	v_add_f64 v[6:7], v[14:15], v[6:7]
	v_fma_f64 v[12:13], v[50:51], s[36:37], -v[18:19]
	v_fma_f64 v[14:15], v[22:23], s[34:35], v[52:53]
	v_fma_f64 v[18:19], v[22:23], s[24:25], v[38:39]
	v_mul_f64 v[52:53], v[20:21], s[28:29]
	v_fma_f64 v[72:73], v[50:51], s[18:19], -v[34:35]
	v_fma_f64 v[38:39], v[22:23], s[22:23], v[38:39]
	v_add_f64 v[34:35], v[16:17], v[10:11]
	v_fma_f64 v[16:17], v[50:51], s[28:29], v[40:41]
	v_add_f64 v[58:59], v[80:81], v[58:59]
	v_add_f64 v[12:13], v[12:13], v[8:9]
	;; [unrolled: 1-line block ×4, first 2 shown]
	v_fma_f64 v[18:19], v[22:23], s[30:31], v[52:53]
	v_add_f64 v[8:9], v[72:73], v[46:47]
	v_add_f64 v[10:11], v[38:39], v[48:49]
	v_fma_f64 v[46:47], v[50:51], s[28:29], -v[40:41]
	v_fma_f64 v[48:49], v[22:23], s[26:27], v[52:53]
	v_mul_f64 v[52:53], v[66:67], s[14:15]
	v_mul_f64 v[54:55], v[20:21], s[6:7]
	v_add_f64 v[38:39], v[16:17], v[56:57]
	v_mul_f64 v[56:57], v[66:67], s[8:9]
	v_mul_f64 v[20:21], v[20:21], s[16:17]
	v_add_f64 v[60:61], v[82:83], v[60:61]
	v_add_f64 v[64:65], v[84:85], v[64:65]
	;; [unrolled: 1-line block ×5, first 2 shown]
	v_fma_f64 v[42:43], v[50:51], s[6:7], v[52:53]
	v_fma_f64 v[44:45], v[22:23], s[4:5], v[54:55]
	v_fma_f64 v[46:47], v[50:51], s[6:7], -v[52:53]
	v_fma_f64 v[48:49], v[22:23], s[14:15], v[54:55]
	v_fma_f64 v[52:53], v[50:51], s[16:17], v[56:57]
	;; [unrolled: 1-line block ×3, first 2 shown]
	v_fma_f64 v[50:51], v[50:51], s[16:17], -v[56:57]
	v_fma_f64 v[56:57], v[22:23], s[8:9], v[20:21]
	v_add_f64 v[32:33], v[32:33], v[76:77]
	v_add_f64 v[42:43], v[42:43], v[60:61]
	;; [unrolled: 1-line block ×8, first 2 shown]
	s_movk_i32 s4, 0xbb0
	v_mov_b32_e32 v50, 4
	v_add_f64 v[6:7], v[56:57], v[6:7]
	v_mad_u32_u24 v24, v24, s4, 0
	v_lshlrev_b32_sdwa v25, v50, v25 dst_sel:DWORD dst_unused:UNUSED_PAD src0_sel:DWORD src1_sel:BYTE_0
	v_add3_u32 v24, v24, v25, v181
	ds_write_b128 v24, v[26:29]
	ds_write_b128 v24, v[30:33] offset:272
	ds_write_b128 v24, v[34:37] offset:544
	;; [unrolled: 1-line block ×10, first 2 shown]
	s_waitcnt lgkmcnt(0)
	s_barrier
	ds_read_b128 v[24:27], v179
	ds_read_b128 v[28:31], v180 offset:2992
	ds_read_b128 v[40:43], v180 offset:5984
	;; [unrolled: 1-line block ×5, first 2 shown]
	s_movk_i32 s4, 0x55
	v_cmp_gt_u32_e32 vcc, s4, v110
	s_and_saveexec_b64 s[4:5], vcc
	s_cbranch_execz .LBB0_17
; %bb.16:
	ds_read_b128 v[4:7], v180 offset:1632
	ds_read_b128 v[20:23], v180 offset:4624
	;; [unrolled: 1-line block ×6, first 2 shown]
.LBB0_17:
	s_or_b64 exec, exec, s[4:5]
	v_mul_u32_u24_e32 v48, 5, v110
	v_lshlrev_b32_e32 v68, 4, v48
	global_load_dwordx4 v[48:51], v68, s[12:13] offset:2720
	global_load_dwordx4 v[52:55], v68, s[12:13] offset:2736
	;; [unrolled: 1-line block ×5, first 2 shown]
	s_mov_b32 s4, 0xe8584caa
	s_mov_b32 s5, 0xbfebb67a
	;; [unrolled: 1-line block ×4, first 2 shown]
	s_waitcnt vmcnt(0) lgkmcnt(0)
	s_barrier
	v_mul_f64 v[68:69], v[30:31], v[50:51]
	v_mul_f64 v[50:51], v[28:29], v[50:51]
	;; [unrolled: 1-line block ×10, first 2 shown]
	v_fma_f64 v[34:35], v[34:35], v[56:57], -v[72:73]
	v_fma_f64 v[38:39], v[38:39], v[60:61], -v[74:75]
	v_fma_f64 v[40:41], v[40:41], v[52:53], v[70:71]
	v_fma_f64 v[28:29], v[28:29], v[48:49], v[68:69]
	;; [unrolled: 1-line block ×4, first 2 shown]
	v_fma_f64 v[30:31], v[30:31], v[48:49], -v[50:51]
	v_fma_f64 v[42:43], v[42:43], v[52:53], -v[54:55]
	v_fma_f64 v[44:45], v[44:45], v[64:65], v[76:77]
	v_add_f64 v[48:49], v[34:35], v[38:39]
	v_fma_f64 v[46:47], v[46:47], v[64:65], -v[66:67]
	v_add_f64 v[50:51], v[24:25], v[40:41]
	v_add_f64 v[62:63], v[34:35], -v[38:39]
	v_add_f64 v[58:59], v[32:33], v[36:37]
	v_add_f64 v[60:61], v[32:33], -v[36:37]
	v_add_f64 v[56:57], v[26:27], v[42:43]
	v_add_f64 v[52:53], v[40:41], v[44:45]
	v_fma_f64 v[48:49], v[48:49], -0.5, v[30:31]
	v_add_f64 v[54:55], v[42:43], -v[46:47]
	v_add_f64 v[42:43], v[42:43], v[46:47]
	v_add_f64 v[40:41], v[40:41], -v[44:45]
	v_add_f64 v[32:33], v[28:29], v[32:33]
	v_add_f64 v[30:31], v[30:31], v[34:35]
	;; [unrolled: 1-line block ×3, first 2 shown]
	v_fma_f64 v[28:29], v[58:59], -0.5, v[28:29]
	v_fma_f64 v[44:45], v[60:61], s[6:7], v[48:49]
	v_fma_f64 v[48:49], v[60:61], s[4:5], v[48:49]
	v_fma_f64 v[24:25], v[52:53], -0.5, v[24:25]
	v_fma_f64 v[26:27], v[42:43], -0.5, v[26:27]
	v_add_f64 v[32:33], v[32:33], v[36:37]
	v_add_f64 v[30:31], v[30:31], v[38:39]
	;; [unrolled: 1-line block ×3, first 2 shown]
	v_fma_f64 v[36:37], v[62:63], s[4:5], v[28:29]
	v_mul_f64 v[38:39], v[44:45], s[4:5]
	v_mul_f64 v[44:45], v[44:45], 0.5
	v_fma_f64 v[28:29], v[62:63], s[6:7], v[28:29]
	v_mul_f64 v[42:43], v[48:49], s[4:5]
	v_mul_f64 v[48:49], v[48:49], -0.5
	v_fma_f64 v[50:51], v[54:55], s[4:5], v[24:25]
	v_fma_f64 v[52:53], v[54:55], s[6:7], v[24:25]
	;; [unrolled: 1-line block ×4, first 2 shown]
	v_fma_f64 v[40:41], v[36:37], 0.5, v[38:39]
	v_fma_f64 v[58:59], v[36:37], s[6:7], v[44:45]
	v_fma_f64 v[42:43], v[28:29], -0.5, v[42:43]
	v_fma_f64 v[48:49], v[28:29], s[6:7], v[48:49]
	v_add_f64 v[24:25], v[34:35], v[32:33]
	v_add_f64 v[26:27], v[46:47], v[30:31]
	v_add_f64 v[28:29], v[34:35], -v[32:33]
	v_add_f64 v[30:31], v[46:47], -v[30:31]
	v_add_f64 v[32:33], v[50:51], v[40:41]
	v_add_f64 v[34:35], v[54:55], v[58:59]
	;; [unrolled: 1-line block ×4, first 2 shown]
	v_add_f64 v[40:41], v[50:51], -v[40:41]
	v_add_f64 v[44:45], v[52:53], -v[42:43]
	;; [unrolled: 1-line block ×4, first 2 shown]
	ds_write_b128 v180, v[24:27]
	ds_write_b128 v180, v[28:31] offset:8976
	ds_write_b128 v180, v[32:35] offset:2992
	;; [unrolled: 1-line block ×5, first 2 shown]
	s_and_saveexec_b64 s[8:9], vcc
	s_cbranch_execz .LBB0_19
; %bb.18:
	v_add_u32_e32 v24, 0x66, v110
	v_add_u32_e32 v25, 0xffffffab, v110
	v_cndmask_b32_e32 v24, v25, v24, vcc
	v_mul_i32_i24_e32 v24, 5, v24
	v_mov_b32_e32 v25, 0
	v_lshlrev_b64 v[24:25], 4, v[24:25]
	v_mov_b32_e32 v26, s13
	v_add_co_u32_e32 v44, vcc, s12, v24
	v_addc_co_u32_e32 v45, vcc, v26, v25, vcc
	global_load_dwordx4 v[24:27], v[44:45], off offset:2736
	global_load_dwordx4 v[28:31], v[44:45], off offset:2768
	global_load_dwordx4 v[32:35], v[44:45], off offset:2752
	global_load_dwordx4 v[36:39], v[44:45], off offset:2784
	global_load_dwordx4 v[40:43], v[44:45], off offset:2720
	s_waitcnt vmcnt(4)
	v_mul_f64 v[44:45], v[16:17], v[26:27]
	s_waitcnt vmcnt(3)
	v_mul_f64 v[46:47], v[12:13], v[30:31]
	;; [unrolled: 2-line block ×4, first 2 shown]
	v_mul_f64 v[26:27], v[18:19], v[26:27]
	s_waitcnt vmcnt(0)
	v_mul_f64 v[52:53], v[22:23], v[42:43]
	v_mul_f64 v[34:35], v[10:11], v[34:35]
	;; [unrolled: 1-line block ×5, first 2 shown]
	v_fma_f64 v[10:11], v[10:11], v[32:33], -v[48:49]
	v_fma_f64 v[2:3], v[2:3], v[36:37], -v[50:51]
	;; [unrolled: 1-line block ×4, first 2 shown]
	v_fma_f64 v[16:17], v[16:17], v[24:25], v[26:27]
	v_fma_f64 v[8:9], v[8:9], v[32:33], v[34:35]
	;; [unrolled: 1-line block ×3, first 2 shown]
	v_fma_f64 v[22:23], v[22:23], v[40:41], -v[42:43]
	v_fma_f64 v[12:13], v[12:13], v[28:29], v[30:31]
	v_add_f64 v[24:25], v[10:11], v[2:3]
	v_fma_f64 v[20:21], v[20:21], v[40:41], v[52:53]
	v_add_f64 v[26:27], v[18:19], v[14:15]
	v_add_f64 v[30:31], v[10:11], -v[2:3]
	v_add_f64 v[36:37], v[6:7], v[18:19]
	v_add_f64 v[32:33], v[8:9], v[0:1]
	v_add_f64 v[34:35], v[8:9], -v[0:1]
	v_add_f64 v[10:11], v[22:23], v[10:11]
	v_fma_f64 v[22:23], v[24:25], -0.5, v[22:23]
	v_add_f64 v[28:29], v[16:17], -v[12:13]
	v_add_f64 v[24:25], v[16:17], v[12:13]
	v_add_f64 v[16:17], v[4:5], v[16:17]
	;; [unrolled: 1-line block ×3, first 2 shown]
	v_fma_f64 v[6:7], v[26:27], -0.5, v[6:7]
	v_fma_f64 v[20:21], v[32:33], -0.5, v[20:21]
	v_add_f64 v[18:19], v[18:19], -v[14:15]
	v_fma_f64 v[26:27], v[34:35], s[4:5], v[22:23]
	v_fma_f64 v[22:23], v[34:35], s[6:7], v[22:23]
	v_fma_f64 v[4:5], v[24:25], -0.5, v[4:5]
	v_add_f64 v[12:13], v[16:17], v[12:13]
	v_add_f64 v[8:9], v[8:9], v[0:1]
	;; [unrolled: 1-line block ×3, first 2 shown]
	v_fma_f64 v[16:17], v[30:31], s[6:7], v[20:21]
	v_fma_f64 v[20:21], v[30:31], s[4:5], v[20:21]
	v_fma_f64 v[30:31], v[28:29], s[4:5], v[6:7]
	v_mul_f64 v[24:25], v[22:23], 0.5
	v_fma_f64 v[28:29], v[28:29], s[6:7], v[6:7]
	v_mul_f64 v[6:7], v[22:23], s[4:5]
	v_mul_f64 v[0:1], v[26:27], -0.5
	v_mul_f64 v[22:23], v[26:27], s[4:5]
	v_add_f64 v[10:11], v[10:11], v[2:3]
	v_fma_f64 v[34:35], v[18:19], s[4:5], v[4:5]
	v_fma_f64 v[26:27], v[18:19], s[6:7], v[4:5]
	;; [unrolled: 1-line block ×3, first 2 shown]
	v_add_f64 v[4:5], v[12:13], v[8:9]
	v_fma_f64 v[36:37], v[20:21], 0.5, v[6:7]
	v_fma_f64 v[32:33], v[16:17], s[6:7], v[0:1]
	v_fma_f64 v[38:39], v[16:17], -0.5, v[22:23]
	v_add_f64 v[6:7], v[14:15], v[10:11]
	v_add_f64 v[2:3], v[14:15], -v[10:11]
	v_add_f64 v[0:1], v[12:13], -v[8:9]
	v_add_f64 v[22:23], v[28:29], v[24:25]
	v_add_f64 v[14:15], v[28:29], -v[24:25]
	v_add_f64 v[20:21], v[34:35], v[36:37]
	v_add_f64 v[18:19], v[30:31], v[32:33]
	;; [unrolled: 1-line block ×3, first 2 shown]
	v_add_f64 v[12:13], v[34:35], -v[36:37]
	v_add_f64 v[10:11], v[30:31], -v[32:33]
	;; [unrolled: 1-line block ×3, first 2 shown]
	ds_write_b128 v180, v[4:7] offset:1632
	ds_write_b128 v180, v[0:3] offset:10608
	;; [unrolled: 1-line block ×6, first 2 shown]
.LBB0_19:
	s_or_b64 exec, exec, s[8:9]
	s_waitcnt lgkmcnt(0)
	s_barrier
	ds_read_b128 v[0:3], v179
	s_add_u32 s6, s12, 0x4510
	s_addc_u32 s7, s13, 0
	v_sub_u32_e32 v10, v178, v111
	v_cmp_ne_u32_e32 vcc, 0, v110
                                        ; implicit-def: $vgpr6_vgpr7
                                        ; implicit-def: $vgpr4_vgpr5
                                        ; implicit-def: $vgpr8_vgpr9
	s_and_saveexec_b64 s[4:5], vcc
	s_xor_b64 s[4:5], exec, s[4:5]
	s_cbranch_execz .LBB0_21
; %bb.20:
	v_mov_b32_e32 v111, 0
	v_lshlrev_b64 v[4:5], 4, v[110:111]
	v_mov_b32_e32 v6, s7
	v_add_co_u32_e32 v4, vcc, s6, v4
	v_addc_co_u32_e32 v5, vcc, v6, v5, vcc
	global_load_dwordx4 v[6:9], v[4:5], off
	ds_read_b128 v[11:14], v10 offset:17952
	s_waitcnt lgkmcnt(0)
	v_add_f64 v[4:5], v[0:1], -v[11:12]
	v_add_f64 v[15:16], v[2:3], v[13:14]
	v_add_f64 v[2:3], v[2:3], -v[13:14]
	v_add_f64 v[0:1], v[0:1], v[11:12]
	v_mul_f64 v[4:5], v[4:5], 0.5
	v_mul_f64 v[13:14], v[15:16], 0.5
	;; [unrolled: 1-line block ×3, first 2 shown]
	s_waitcnt vmcnt(0)
	v_mul_f64 v[11:12], v[4:5], v[8:9]
	v_fma_f64 v[15:16], v[13:14], v[8:9], v[2:3]
	v_fma_f64 v[2:3], v[13:14], v[8:9], -v[2:3]
	v_fma_f64 v[8:9], v[0:1], 0.5, v[11:12]
	v_fma_f64 v[0:1], v[0:1], 0.5, -v[11:12]
	v_fma_f64 v[11:12], -v[6:7], v[4:5], v[15:16]
	v_fma_f64 v[2:3], -v[6:7], v[4:5], v[2:3]
	ds_write_b64 v179, v[11:12] offset:8
	ds_write_b64 v10, v[2:3] offset:17960
	v_fma_f64 v[4:5], v[13:14], v[6:7], v[8:9]
	v_mov_b32_e32 v8, v110
	v_fma_f64 v[6:7], -v[13:14], v[6:7], v[0:1]
	v_mov_b32_e32 v9, v111
                                        ; implicit-def: $vgpr0_vgpr1
.LBB0_21:
	s_andn2_saveexec_b64 s[4:5], s[4:5]
	s_cbranch_execz .LBB0_23
; %bb.22:
	s_mov_b32 s8, 0
	s_mov_b32 s9, s8
	v_mov_b32_e32 v8, s8
	s_waitcnt lgkmcnt(0)
	v_add_f64 v[4:5], v[0:1], v[2:3]
	v_mov_b32_e32 v9, s9
	v_add_f64 v[6:7], v[0:1], -v[2:3]
	ds_write_b64 v179, v[8:9] offset:8
	ds_write_b64 v10, v[8:9] offset:17960
	ds_read_b64 v[0:1], v178 offset:8984
	v_mov_b32_e32 v8, 0
	v_mov_b32_e32 v9, 0
	s_waitcnt lgkmcnt(0)
	v_xor_b32_e32 v1, 0x80000000, v1
	ds_write_b64 v178, v[0:1] offset:8984
.LBB0_23:
	s_or_b64 exec, exec, s[4:5]
	s_waitcnt lgkmcnt(0)
	v_lshlrev_b64 v[0:1], 4, v[8:9]
	v_mov_b32_e32 v2, s7
	v_add_co_u32_e32 v8, vcc, s6, v0
	v_addc_co_u32_e32 v9, vcc, v2, v1, vcc
	global_load_dwordx4 v[11:14], v[8:9], off offset:1632
	global_load_dwordx4 v[15:18], v[8:9], off offset:3264
	ds_write_b64 v179, v[4:5]
	ds_write_b64 v10, v[6:7] offset:17952
	ds_read_b128 v[0:3], v179 offset:1632
	ds_read_b128 v[4:7], v10 offset:16320
	s_movk_i32 s4, 0x1000
	s_waitcnt lgkmcnt(0)
	v_add_f64 v[19:20], v[0:1], -v[4:5]
	v_add_f64 v[21:22], v[2:3], v[6:7]
	v_add_f64 v[2:3], v[2:3], -v[6:7]
	v_add_f64 v[0:1], v[0:1], v[4:5]
	v_mul_f64 v[6:7], v[19:20], 0.5
	v_mul_f64 v[19:20], v[21:22], 0.5
	;; [unrolled: 1-line block ×3, first 2 shown]
	s_waitcnt vmcnt(1)
	v_mul_f64 v[4:5], v[6:7], v[13:14]
	v_fma_f64 v[21:22], v[19:20], v[13:14], v[2:3]
	v_fma_f64 v[13:14], v[19:20], v[13:14], -v[2:3]
	v_fma_f64 v[23:24], v[0:1], 0.5, v[4:5]
	v_fma_f64 v[25:26], v[0:1], 0.5, -v[4:5]
	v_add_co_u32_e32 v0, vcc, s4, v8
	v_addc_co_u32_e32 v1, vcc, 0, v9, vcc
	global_load_dwordx4 v[2:5], v[0:1], off offset:800
	v_fma_f64 v[8:9], -v[11:12], v[6:7], v[21:22]
	v_fma_f64 v[13:14], -v[11:12], v[6:7], v[13:14]
	v_fma_f64 v[6:7], v[19:20], v[11:12], v[23:24]
	v_fma_f64 v[11:12], -v[19:20], v[11:12], v[25:26]
	v_cmp_gt_u32_e32 vcc, 51, v110
	ds_write_b128 v179, v[6:9] offset:1632
	ds_write_b128 v10, v[11:14] offset:16320
	ds_read_b128 v[6:9], v179 offset:3264
	ds_read_b128 v[11:14], v10 offset:14688
	s_waitcnt lgkmcnt(0)
	v_add_f64 v[19:20], v[6:7], -v[11:12]
	v_add_f64 v[21:22], v[8:9], v[13:14]
	v_add_f64 v[8:9], v[8:9], -v[13:14]
	v_add_f64 v[6:7], v[6:7], v[11:12]
	v_mul_f64 v[19:20], v[19:20], 0.5
	v_mul_f64 v[21:22], v[21:22], 0.5
	;; [unrolled: 1-line block ×3, first 2 shown]
	s_waitcnt vmcnt(1)
	v_mul_f64 v[11:12], v[19:20], v[17:18]
	v_fma_f64 v[13:14], v[21:22], v[17:18], v[8:9]
	v_fma_f64 v[17:18], v[21:22], v[17:18], -v[8:9]
	v_fma_f64 v[23:24], v[6:7], 0.5, v[11:12]
	v_fma_f64 v[25:26], v[6:7], 0.5, -v[11:12]
	global_load_dwordx4 v[6:9], v[0:1], off offset:2432
	v_fma_f64 v[13:14], -v[15:16], v[19:20], v[13:14]
	v_fma_f64 v[17:18], -v[15:16], v[19:20], v[17:18]
	v_fma_f64 v[11:12], v[21:22], v[15:16], v[23:24]
	v_fma_f64 v[15:16], -v[21:22], v[15:16], v[25:26]
	ds_write_b128 v179, v[11:14] offset:3264
	ds_write_b128 v10, v[15:18] offset:14688
	ds_read_b128 v[11:14], v179 offset:4896
	ds_read_b128 v[15:18], v10 offset:13056
	s_waitcnt lgkmcnt(0)
	v_add_f64 v[19:20], v[11:12], -v[15:16]
	v_add_f64 v[21:22], v[13:14], v[17:18]
	v_add_f64 v[13:14], v[13:14], -v[17:18]
	v_add_f64 v[11:12], v[11:12], v[15:16]
	v_mul_f64 v[17:18], v[19:20], 0.5
	v_mul_f64 v[19:20], v[21:22], 0.5
	;; [unrolled: 1-line block ×3, first 2 shown]
	s_waitcnt vmcnt(1)
	v_mul_f64 v[15:16], v[17:18], v[4:5]
	v_fma_f64 v[21:22], v[19:20], v[4:5], v[13:14]
	v_fma_f64 v[4:5], v[19:20], v[4:5], -v[13:14]
	v_fma_f64 v[23:24], v[11:12], 0.5, v[15:16]
	v_fma_f64 v[15:16], v[11:12], 0.5, -v[15:16]
	v_fma_f64 v[13:14], -v[2:3], v[17:18], v[21:22]
	v_fma_f64 v[4:5], -v[2:3], v[17:18], v[4:5]
	v_fma_f64 v[11:12], v[19:20], v[2:3], v[23:24]
	v_fma_f64 v[2:3], -v[19:20], v[2:3], v[15:16]
	ds_write_b128 v179, v[11:14] offset:4896
	ds_write_b128 v10, v[2:5] offset:13056
	ds_read_b128 v[2:5], v179 offset:6528
	ds_read_b128 v[11:14], v10 offset:11424
	s_waitcnt lgkmcnt(0)
	v_add_f64 v[15:16], v[2:3], -v[11:12]
	v_add_f64 v[17:18], v[4:5], v[13:14]
	v_add_f64 v[4:5], v[4:5], -v[13:14]
	v_add_f64 v[2:3], v[2:3], v[11:12]
	v_mul_f64 v[13:14], v[15:16], 0.5
	v_mul_f64 v[15:16], v[17:18], 0.5
	v_mul_f64 v[4:5], v[4:5], 0.5
	s_waitcnt vmcnt(0)
	v_mul_f64 v[11:12], v[13:14], v[8:9]
	v_fma_f64 v[17:18], v[15:16], v[8:9], v[4:5]
	v_fma_f64 v[8:9], v[15:16], v[8:9], -v[4:5]
	v_fma_f64 v[19:20], v[2:3], 0.5, v[11:12]
	v_fma_f64 v[11:12], v[2:3], 0.5, -v[11:12]
	v_fma_f64 v[4:5], -v[6:7], v[13:14], v[17:18]
	v_fma_f64 v[8:9], -v[6:7], v[13:14], v[8:9]
	v_fma_f64 v[2:3], v[15:16], v[6:7], v[19:20]
	v_fma_f64 v[6:7], -v[15:16], v[6:7], v[11:12]
	ds_write_b128 v179, v[2:5] offset:6528
	ds_write_b128 v10, v[6:9] offset:11424
	s_and_saveexec_b64 s[4:5], vcc
	s_cbranch_execz .LBB0_25
; %bb.24:
	global_load_dwordx4 v[0:3], v[0:1], off offset:4064
	ds_read_b128 v[4:7], v179 offset:8160
	ds_read_b128 v[11:14], v10 offset:9792
	s_waitcnt lgkmcnt(0)
	v_add_f64 v[8:9], v[4:5], -v[11:12]
	v_add_f64 v[15:16], v[6:7], v[13:14]
	v_add_f64 v[6:7], v[6:7], -v[13:14]
	v_add_f64 v[4:5], v[4:5], v[11:12]
	v_mul_f64 v[8:9], v[8:9], 0.5
	v_mul_f64 v[13:14], v[15:16], 0.5
	;; [unrolled: 1-line block ×3, first 2 shown]
	s_waitcnt vmcnt(0)
	v_mul_f64 v[11:12], v[8:9], v[2:3]
	v_fma_f64 v[15:16], v[13:14], v[2:3], v[6:7]
	v_fma_f64 v[2:3], v[13:14], v[2:3], -v[6:7]
	v_fma_f64 v[6:7], v[4:5], 0.5, v[11:12]
	v_fma_f64 v[11:12], v[4:5], 0.5, -v[11:12]
	v_fma_f64 v[4:5], -v[0:1], v[8:9], v[15:16]
	v_fma_f64 v[8:9], -v[0:1], v[8:9], v[2:3]
	v_fma_f64 v[2:3], v[13:14], v[0:1], v[6:7]
	v_fma_f64 v[6:7], -v[13:14], v[0:1], v[11:12]
	ds_write_b128 v179, v[2:5] offset:8160
	ds_write_b128 v10, v[6:9] offset:9792
.LBB0_25:
	s_or_b64 exec, exec, s[4:5]
	s_waitcnt lgkmcnt(0)
	s_barrier
	s_and_saveexec_b64 s[4:5], s[0:1]
	s_cbranch_execz .LBB0_28
; %bb.26:
	v_mul_lo_u32 v0, s3, v112
	v_mul_lo_u32 v3, s2, v113
	v_mad_u64_u32 v[1:2], s[0:1], s2, v112, 0
	v_mov_b32_e32 v7, s11
	v_mov_b32_e32 v111, 0
	v_add3_u32 v2, v2, v3, v0
	v_lshlrev_b64 v[1:2], 4, v[1:2]
	v_lshl_add_u32 v0, v110, 4, v178
	v_add_co_u32_e32 v1, vcc, s10, v1
	v_addc_co_u32_e32 v9, vcc, v7, v2, vcc
	v_lshlrev_b64 v[7:8], 4, v[108:109]
	ds_read_b128 v[3:6], v0
	v_add_co_u32_e32 v2, vcc, v1, v7
	v_addc_co_u32_e32 v1, vcc, v9, v8, vcc
	v_lshlrev_b64 v[7:8], 4, v[110:111]
	s_movk_i32 s0, 0x65
	v_add_co_u32_e32 v11, vcc, v2, v7
	v_addc_co_u32_e32 v12, vcc, v1, v8, vcc
	ds_read_b128 v[7:10], v0 offset:1632
	s_waitcnt lgkmcnt(1)
	global_store_dwordx4 v[11:12], v[3:6], off
	s_nop 0
	v_add_u32_e32 v3, 0x66, v110
	v_mov_b32_e32 v4, v111
	v_lshlrev_b64 v[3:4], 4, v[3:4]
	v_add_co_u32_e32 v3, vcc, v2, v3
	v_addc_co_u32_e32 v4, vcc, v1, v4, vcc
	s_waitcnt lgkmcnt(0)
	global_store_dwordx4 v[3:4], v[7:10], off
	ds_read_b128 v[3:6], v0 offset:3264
	v_add_u32_e32 v7, 0xcc, v110
	v_mov_b32_e32 v8, v111
	v_lshlrev_b64 v[7:8], 4, v[7:8]
	v_add_co_u32_e32 v11, vcc, v2, v7
	v_addc_co_u32_e32 v12, vcc, v1, v8, vcc
	ds_read_b128 v[7:10], v0 offset:4896
	s_waitcnt lgkmcnt(1)
	global_store_dwordx4 v[11:12], v[3:6], off
	s_nop 0
	v_add_u32_e32 v3, 0x132, v110
	v_mov_b32_e32 v4, v111
	v_lshlrev_b64 v[3:4], 4, v[3:4]
	v_add_co_u32_e32 v3, vcc, v2, v3
	v_addc_co_u32_e32 v4, vcc, v1, v4, vcc
	s_waitcnt lgkmcnt(0)
	global_store_dwordx4 v[3:4], v[7:10], off
	ds_read_b128 v[3:6], v0 offset:6528
	v_add_u32_e32 v7, 0x198, v110
	v_mov_b32_e32 v8, v111
	v_lshlrev_b64 v[7:8], 4, v[7:8]
	;; [unrolled: 17-line block ×5, first 2 shown]
	v_add_co_u32_e32 v7, vcc, v2, v7
	v_addc_co_u32_e32 v8, vcc, v1, v8, vcc
	v_cmp_eq_u32_e32 vcc, s0, v110
	s_waitcnt lgkmcnt(0)
	global_store_dwordx4 v[7:8], v[3:6], off
	s_and_b64 exec, exec, vcc
	s_cbranch_execz .LBB0_28
; %bb.27:
	ds_read_b128 v[3:6], v0 offset:16336
	v_add_co_u32_e32 v0, vcc, 0x4000, v2
	v_addc_co_u32_e32 v1, vcc, 0, v1, vcc
	s_waitcnt lgkmcnt(0)
	global_store_dwordx4 v[0:1], v[3:6], off offset:1568
.LBB0_28:
	s_endpgm
	.section	.rodata,"a",@progbits
	.p2align	6, 0x0
	.amdhsa_kernel fft_rtc_back_len1122_factors_17_11_6_wgs_204_tpt_102_halfLds_dp_op_CI_CI_unitstride_sbrr_R2C_dirReg
		.amdhsa_group_segment_fixed_size 0
		.amdhsa_private_segment_fixed_size 0
		.amdhsa_kernarg_size 104
		.amdhsa_user_sgpr_count 6
		.amdhsa_user_sgpr_private_segment_buffer 1
		.amdhsa_user_sgpr_dispatch_ptr 0
		.amdhsa_user_sgpr_queue_ptr 0
		.amdhsa_user_sgpr_kernarg_segment_ptr 1
		.amdhsa_user_sgpr_dispatch_id 0
		.amdhsa_user_sgpr_flat_scratch_init 0
		.amdhsa_user_sgpr_private_segment_size 0
		.amdhsa_uses_dynamic_stack 0
		.amdhsa_system_sgpr_private_segment_wavefront_offset 0
		.amdhsa_system_sgpr_workgroup_id_x 1
		.amdhsa_system_sgpr_workgroup_id_y 0
		.amdhsa_system_sgpr_workgroup_id_z 0
		.amdhsa_system_sgpr_workgroup_info 0
		.amdhsa_system_vgpr_workitem_id 0
		.amdhsa_next_free_vgpr 254
		.amdhsa_next_free_sgpr 58
		.amdhsa_reserve_vcc 1
		.amdhsa_reserve_flat_scratch 0
		.amdhsa_float_round_mode_32 0
		.amdhsa_float_round_mode_16_64 0
		.amdhsa_float_denorm_mode_32 3
		.amdhsa_float_denorm_mode_16_64 3
		.amdhsa_dx10_clamp 1
		.amdhsa_ieee_mode 1
		.amdhsa_fp16_overflow 0
		.amdhsa_exception_fp_ieee_invalid_op 0
		.amdhsa_exception_fp_denorm_src 0
		.amdhsa_exception_fp_ieee_div_zero 0
		.amdhsa_exception_fp_ieee_overflow 0
		.amdhsa_exception_fp_ieee_underflow 0
		.amdhsa_exception_fp_ieee_inexact 0
		.amdhsa_exception_int_div_zero 0
	.end_amdhsa_kernel
	.text
.Lfunc_end0:
	.size	fft_rtc_back_len1122_factors_17_11_6_wgs_204_tpt_102_halfLds_dp_op_CI_CI_unitstride_sbrr_R2C_dirReg, .Lfunc_end0-fft_rtc_back_len1122_factors_17_11_6_wgs_204_tpt_102_halfLds_dp_op_CI_CI_unitstride_sbrr_R2C_dirReg
                                        ; -- End function
	.section	.AMDGPU.csdata,"",@progbits
; Kernel info:
; codeLenInByte = 14784
; NumSgprs: 62
; NumVgprs: 254
; ScratchSize: 0
; MemoryBound: 0
; FloatMode: 240
; IeeeMode: 1
; LDSByteSize: 0 bytes/workgroup (compile time only)
; SGPRBlocks: 7
; VGPRBlocks: 63
; NumSGPRsForWavesPerEU: 62
; NumVGPRsForWavesPerEU: 254
; Occupancy: 1
; WaveLimiterHint : 1
; COMPUTE_PGM_RSRC2:SCRATCH_EN: 0
; COMPUTE_PGM_RSRC2:USER_SGPR: 6
; COMPUTE_PGM_RSRC2:TRAP_HANDLER: 0
; COMPUTE_PGM_RSRC2:TGID_X_EN: 1
; COMPUTE_PGM_RSRC2:TGID_Y_EN: 0
; COMPUTE_PGM_RSRC2:TGID_Z_EN: 0
; COMPUTE_PGM_RSRC2:TIDIG_COMP_CNT: 0
	.type	__hip_cuid_1f7ffa096cac0bf9,@object ; @__hip_cuid_1f7ffa096cac0bf9
	.section	.bss,"aw",@nobits
	.globl	__hip_cuid_1f7ffa096cac0bf9
__hip_cuid_1f7ffa096cac0bf9:
	.byte	0                               ; 0x0
	.size	__hip_cuid_1f7ffa096cac0bf9, 1

	.ident	"AMD clang version 19.0.0git (https://github.com/RadeonOpenCompute/llvm-project roc-6.4.0 25133 c7fe45cf4b819c5991fe208aaa96edf142730f1d)"
	.section	".note.GNU-stack","",@progbits
	.addrsig
	.addrsig_sym __hip_cuid_1f7ffa096cac0bf9
	.amdgpu_metadata
---
amdhsa.kernels:
  - .args:
      - .actual_access:  read_only
        .address_space:  global
        .offset:         0
        .size:           8
        .value_kind:     global_buffer
      - .offset:         8
        .size:           8
        .value_kind:     by_value
      - .actual_access:  read_only
        .address_space:  global
        .offset:         16
        .size:           8
        .value_kind:     global_buffer
      - .actual_access:  read_only
        .address_space:  global
        .offset:         24
        .size:           8
        .value_kind:     global_buffer
      - .actual_access:  read_only
        .address_space:  global
        .offset:         32
        .size:           8
        .value_kind:     global_buffer
      - .offset:         40
        .size:           8
        .value_kind:     by_value
      - .actual_access:  read_only
        .address_space:  global
        .offset:         48
        .size:           8
        .value_kind:     global_buffer
      - .actual_access:  read_only
        .address_space:  global
        .offset:         56
        .size:           8
        .value_kind:     global_buffer
      - .offset:         64
        .size:           4
        .value_kind:     by_value
      - .actual_access:  read_only
        .address_space:  global
        .offset:         72
        .size:           8
        .value_kind:     global_buffer
      - .actual_access:  read_only
        .address_space:  global
        .offset:         80
        .size:           8
        .value_kind:     global_buffer
      - .actual_access:  read_only
        .address_space:  global
        .offset:         88
        .size:           8
        .value_kind:     global_buffer
      - .actual_access:  write_only
        .address_space:  global
        .offset:         96
        .size:           8
        .value_kind:     global_buffer
    .group_segment_fixed_size: 0
    .kernarg_segment_align: 8
    .kernarg_segment_size: 104
    .language:       OpenCL C
    .language_version:
      - 2
      - 0
    .max_flat_workgroup_size: 204
    .name:           fft_rtc_back_len1122_factors_17_11_6_wgs_204_tpt_102_halfLds_dp_op_CI_CI_unitstride_sbrr_R2C_dirReg
    .private_segment_fixed_size: 0
    .sgpr_count:     62
    .sgpr_spill_count: 0
    .symbol:         fft_rtc_back_len1122_factors_17_11_6_wgs_204_tpt_102_halfLds_dp_op_CI_CI_unitstride_sbrr_R2C_dirReg.kd
    .uniform_work_group_size: 1
    .uses_dynamic_stack: false
    .vgpr_count:     254
    .vgpr_spill_count: 0
    .wavefront_size: 64
amdhsa.target:   amdgcn-amd-amdhsa--gfx906
amdhsa.version:
  - 1
  - 2
...

	.end_amdgpu_metadata
